;; amdgpu-corpus repo=pytorch/pytorch kind=compiled arch=gfx950 opt=O3
	.amdgcn_target "amdgcn-amd-amdhsa--gfx950"
	.amdhsa_code_object_version 6
	.section	.text._ZN2at6native6detailL51split_with_sizes_copy_out_contiguous_no_cast_kernelEPPcS3_PlS4_S4_ll,"axG",@progbits,_ZN2at6native6detailL51split_with_sizes_copy_out_contiguous_no_cast_kernelEPPcS3_PlS4_S4_ll,comdat
	.globl	_ZN2at6native6detailL51split_with_sizes_copy_out_contiguous_no_cast_kernelEPPcS3_PlS4_S4_ll ; -- Begin function _ZN2at6native6detailL51split_with_sizes_copy_out_contiguous_no_cast_kernelEPPcS3_PlS4_S4_ll
	.p2align	8
	.type	_ZN2at6native6detailL51split_with_sizes_copy_out_contiguous_no_cast_kernelEPPcS3_PlS4_S4_ll,@function
_ZN2at6native6detailL51split_with_sizes_copy_out_contiguous_no_cast_kernelEPPcS3_PlS4_S4_ll: ; @_ZN2at6native6detailL51split_with_sizes_copy_out_contiguous_no_cast_kernelEPPcS3_PlS4_S4_ll
; %bb.0:
	s_load_dwordx4 s[16:19], s[0:1], 0x30
	s_mov_b32 s24, s3
	s_mov_b32 s25, 0
	v_mov_b64_e32 v[2:3], s[24:25]
	s_waitcnt lgkmcnt(0)
	v_cmp_le_i64_e32 vcc, s[16:17], v[2:3]
	s_cbranch_vccnz .LBB0_14
; %bb.1:
	s_load_dwordx8 s[4:11], s[0:1], 0x0
	s_mov_b32 s3, s25
	s_lshl_b64 s[12:13], s[2:3], 3
	v_mov_b32_e32 v1, 0
	s_waitcnt lgkmcnt(0)
	s_add_u32 s10, s10, s12
	s_addc_u32 s11, s11, s13
	s_load_dwordx2 s[18:19], s[10:11], 0x0
	s_load_dwordx4 s[12:15], s[0:1], 0x20
	s_load_dword s33, s[0:1], 0x3c
	s_load_dword s26, s[0:1], 0x44
	s_waitcnt lgkmcnt(0)
	s_lshl_b64 s[0:1], s[18:19], 3
	s_add_u32 s10, s12, s0
	s_addc_u32 s11, s13, s1
	s_load_dwordx4 s[20:23], s[10:11], 0x0
	s_and_b32 s26, s26, 0xffff
	v_mov_b32_e32 v6, s26
	s_waitcnt lgkmcnt(0)
	s_sub_u32 s10, s2, s20
	s_subb_u32 s12, 0, s21
	s_mul_hi_u32 s13, s10, s26
	s_mul_i32 s12, s12, s26
	s_add_i32 s19, s13, s12
	s_add_u32 s8, s8, s0
	s_addc_u32 s9, s9, s1
	s_add_u32 s4, s4, s0
	s_addc_u32 s5, s5, s1
	;; [unrolled: 2-line block ×3, first 2 shown]
	s_load_dwordx2 s[6:7], s[0:1], 0x0
	s_sub_u32 s0, s22, s20
	s_mul_i32 s18, s10, s26
	v_mad_u64_u32 v[2:3], s[10:11], s10, v6, v[0:1]
	s_subb_u32 s1, s23, s21
	s_load_dwordx2 s[10:11], s[4:5], 0x0
	s_mul_i32 s1, s1, s26
	s_mul_hi_u32 s4, s0, s26
	s_load_dwordx2 s[8:9], s[8:9], 0x0
	s_add_i32 s5, s4, s1
	s_mul_i32 s4, s0, s26
	v_add_u32_e32 v3, s12, v3
	s_lshl_b64 s[12:13], s[4:5], 4
	s_lshl_b64 s[2:3], s[2:3], 4
	;; [unrolled: 1-line block ×3, first 2 shown]
	s_sub_u32 s2, s2, s20
	s_subb_u32 s3, s3, s21
	v_lshlrev_b32_e32 v0, 4, v0
	s_mul_i32 s20, s3, s26
	v_mad_u64_u32 v[6:7], s[2:3], s2, v6, v[0:1]
	s_waitcnt lgkmcnt(0)
	s_mul_i32 s2, s9, s24
	s_mul_hi_u32 s3, s8, s24
	s_add_i32 s3, s3, s2
	s_mul_i32 s2, s8, s24
	s_add_u32 s2, s10, s2
	s_addc_u32 s3, s11, s3
	v_mov_b32_e32 v8, s3
	v_subrev_co_u32_e32 v6, vcc, s2, v6
	s_mul_i32 s2, s9, s33
	s_mul_hi_u32 s3, s8, s33
	v_add_u32_e32 v7, s20, v7
	s_add_i32 s20, s3, s2
	s_lshl_b64 s[18:19], s[18:19], 4
	s_sub_u32 s21, s14, s8
	s_subb_u32 s22, s15, s9
	s_mul_i32 s2, s22, s24
	s_mul_hi_u32 s3, s21, s24
	s_add_i32 s3, s3, s2
	s_mul_i32 s2, s21, s24
	s_add_u32 s2, s18, s2
	s_addc_u32 s3, s19, s3
	v_subb_co_u32_e32 v7, vcc, v7, v8, vcc
	v_lshl_add_u64 v[8:9], s[2:3], 0, v[0:1]
	v_mov_b32_e32 v10, s11
	v_subrev_co_u32_e32 v8, vcc, s10, v8
	v_lshl_add_u64 v[0:1], s[18:19], 0, v[0:1]
	s_nop 0
	v_subb_co_u32_e32 v9, vcc, v9, v10, vcc
	v_subrev_co_u32_e32 v0, vcc, s10, v0
	v_mov_b64_e32 v[4:5], s[4:5]
	s_mul_i32 s22, s22, s33
	s_mul_hi_u32 s2, s21, s33
	v_subb_co_u32_e32 v1, vcc, v1, v10, vcc
	v_cmp_ge_i64_e64 s[0:1], s[8:9], v[4:5]
	v_lshlrev_b64 v[4:5], 4, v[2:3]
	v_cmp_gt_i64_e64 s[4:5], s[8:9], v[2:3]
	s_mul_i32 s34, s8, s33
	v_lshl_add_u64 v[8:9], s[6:7], 0, v[8:9]
	s_add_i32 s3, s2, s22
	s_mul_i32 s2, s21, s33
	v_lshl_add_u64 v[0:1], s[10:11], 0, v[0:1]
	v_mov_b32_e32 v18, s20
	v_mov_b64_e32 v[10:11], s[16:17]
	s_branch .LBB0_3
.LBB0_2:                                ;   in Loop: Header=BB0_3 Depth=1
	s_or_b64 exec, exec, s[22:23]
	s_add_u32 s24, s24, s33
	v_subrev_co_u32_e32 v6, vcc, s34, v6
	s_addc_u32 s25, s25, 0
	s_nop 0
	v_subb_co_u32_e32 v7, vcc, v7, v18, vcc
	v_cmp_ge_i64_e32 vcc, s[24:25], v[10:11]
	v_lshl_add_u64 v[8:9], v[8:9], 0, s[2:3]
	s_cbranch_vccnz .LBB0_14
.LBB0_3:                                ; =>This Loop Header: Depth=1
                                        ;     Child Loop BB0_6 Depth 2
	s_mul_i32 s16, s24, s9
	s_mul_hi_u32 s17, s24, s8
	s_add_i32 s16, s17, s16
	s_mul_i32 s17, s25, s8
	s_add_i32 s17, s16, s17
	s_mul_i32 s16, s24, s8
	s_add_u32 s16, s10, s16
	s_mul_i32 s18, s24, s15
	s_mul_hi_u32 s19, s24, s14
	s_addc_u32 s17, s11, s17
	s_add_i32 s18, s19, s18
	s_mul_i32 s19, s25, s14
	s_add_i32 s19, s18, s19
	s_mul_i32 s18, s24, s14
	s_add_u32 s18, s6, s18
	s_addc_u32 s19, s7, s19
	s_and_b64 vcc, exec, s[0:1]
	s_cbranch_vccz .LBB0_10
; %bb.4:                                ;   in Loop: Header=BB0_3 Depth=1
	s_add_u32 s20, s16, 15
	s_addc_u32 s21, s17, 0
	s_ashr_i32 s22, s21, 31
	s_lshr_b32 s22, s22, 28
	s_add_u32 s20, s20, s22
	s_addc_u32 s29, s21, 0
	s_and_b32 s28, s20, -16
	s_sub_u32 s22, s28, s16
	s_subb_u32 s23, s29, s17
	s_sub_u32 s20, s8, s22
	s_subb_u32 s21, s9, s23
	s_ashr_i32 s26, s21, 31
	s_lshr_b32 s26, s26, 28
	s_add_u32 s20, s20, s26
	s_addc_u32 s27, s21, 0
	s_and_b32 s26, s20, -16
	s_add_u32 s20, s26, s22
	s_addc_u32 s21, s27, s23
	v_cmp_gt_i64_e32 vcc, s[26:27], v[4:5]
	s_and_saveexec_b64 s[26:27], vcc
	s_cbranch_execz .LBB0_7
; %bb.5:                                ;   in Loop: Header=BB0_3 Depth=1
	v_lshl_add_u64 v[12:13], v[6:7], 0, s[28:29]
	v_lshl_add_u64 v[14:15], v[8:9], 0, s[28:29]
	;; [unrolled: 1-line block ×3, first 2 shown]
	s_mov_b64 s[28:29], 0
	s_mov_b64 s[30:31], 0
.LBB0_6:                                ;   Parent Loop BB0_3 Depth=1
                                        ; =>  This Inner Loop Header: Depth=2
	v_lshl_add_u64 v[20:21], v[14:15], 0, s[30:31]
	flat_load_dwordx4 v[20:23], v[20:21]
	v_lshl_add_u64 v[24:25], v[16:17], 0, s[30:31]
	s_add_u32 s30, s30, s12
	s_addc_u32 s31, s31, s13
	v_lshl_add_u64 v[26:27], v[12:13], 0, s[30:31]
	v_cmp_le_i64_e32 vcc, s[20:21], v[26:27]
	s_or_b64 s[28:29], vcc, s[28:29]
	s_waitcnt vmcnt(0) lgkmcnt(0)
	flat_store_dwordx4 v[24:25], v[20:23]
	s_andn2_b64 exec, exec, s[28:29]
	s_cbranch_execnz .LBB0_6
.LBB0_7:                                ;   in Loop: Header=BB0_3 Depth=1
	s_or_b64 exec, exec, s[26:27]
	v_cmp_gt_i64_e32 vcc, s[22:23], v[2:3]
	s_and_b64 s[26:27], s[4:5], vcc
	s_and_saveexec_b64 s[22:23], s[26:27]
	s_cbranch_execz .LBB0_9
; %bb.8:                                ;   in Loop: Header=BB0_3 Depth=1
	v_lshl_add_u64 v[12:13], s[18:19], 0, v[2:3]
	flat_load_ubyte v14, v[12:13]
	v_lshl_add_u64 v[12:13], s[16:17], 0, v[2:3]
	s_waitcnt vmcnt(0) lgkmcnt(0)
	flat_store_byte v[12:13], v14
.LBB0_9:                                ;   in Loop: Header=BB0_3 Depth=1
	s_or_b64 exec, exec, s[22:23]
	v_lshl_add_u64 v[12:13], s[20:21], 0, v[2:3]
	v_cmp_gt_i64_e64 s[20:21], s[8:9], v[12:13]
	s_branch .LBB0_12
.LBB0_10:                               ;   in Loop: Header=BB0_3 Depth=1
	s_mov_b64 s[20:21], 0
                                        ; implicit-def: $vgpr12_vgpr13
	s_cbranch_execz .LBB0_12
; %bb.11:                               ;   in Loop: Header=BB0_3 Depth=1
	s_andn2_b64 s[20:21], s[20:21], exec
	s_and_b64 s[22:23], s[4:5], exec
	s_or_b64 s[20:21], s[20:21], s[22:23]
	v_mov_b64_e32 v[12:13], v[2:3]
.LBB0_12:                               ;   in Loop: Header=BB0_3 Depth=1
	s_and_saveexec_b64 s[22:23], s[20:21]
	s_cbranch_execz .LBB0_2
; %bb.13:                               ;   in Loop: Header=BB0_3 Depth=1
	v_lshl_add_u64 v[14:15], s[18:19], 0, v[12:13]
	flat_load_ubyte v14, v[14:15]
	v_lshl_add_u64 v[12:13], s[16:17], 0, v[12:13]
	s_waitcnt vmcnt(0) lgkmcnt(0)
	flat_store_byte v[12:13], v14
	s_branch .LBB0_2
.LBB0_14:
	s_endpgm
	.section	.rodata,"a",@progbits
	.p2align	6, 0x0
	.amdhsa_kernel _ZN2at6native6detailL51split_with_sizes_copy_out_contiguous_no_cast_kernelEPPcS3_PlS4_S4_ll
		.amdhsa_group_segment_fixed_size 0
		.amdhsa_private_segment_fixed_size 0
		.amdhsa_kernarg_size 312
		.amdhsa_user_sgpr_count 2
		.amdhsa_user_sgpr_dispatch_ptr 0
		.amdhsa_user_sgpr_queue_ptr 0
		.amdhsa_user_sgpr_kernarg_segment_ptr 1
		.amdhsa_user_sgpr_dispatch_id 0
		.amdhsa_user_sgpr_kernarg_preload_length 0
		.amdhsa_user_sgpr_kernarg_preload_offset 0
		.amdhsa_user_sgpr_private_segment_size 0
		.amdhsa_uses_dynamic_stack 0
		.amdhsa_enable_private_segment 0
		.amdhsa_system_sgpr_workgroup_id_x 1
		.amdhsa_system_sgpr_workgroup_id_y 1
		.amdhsa_system_sgpr_workgroup_id_z 0
		.amdhsa_system_sgpr_workgroup_info 0
		.amdhsa_system_vgpr_workitem_id 0
		.amdhsa_next_free_vgpr 28
		.amdhsa_next_free_sgpr 35
		.amdhsa_accum_offset 28
		.amdhsa_reserve_vcc 1
		.amdhsa_float_round_mode_32 0
		.amdhsa_float_round_mode_16_64 0
		.amdhsa_float_denorm_mode_32 3
		.amdhsa_float_denorm_mode_16_64 3
		.amdhsa_dx10_clamp 1
		.amdhsa_ieee_mode 1
		.amdhsa_fp16_overflow 0
		.amdhsa_tg_split 0
		.amdhsa_exception_fp_ieee_invalid_op 0
		.amdhsa_exception_fp_denorm_src 0
		.amdhsa_exception_fp_ieee_div_zero 0
		.amdhsa_exception_fp_ieee_overflow 0
		.amdhsa_exception_fp_ieee_underflow 0
		.amdhsa_exception_fp_ieee_inexact 0
		.amdhsa_exception_int_div_zero 0
	.end_amdhsa_kernel
	.section	.text._ZN2at6native6detailL51split_with_sizes_copy_out_contiguous_no_cast_kernelEPPcS3_PlS4_S4_ll,"axG",@progbits,_ZN2at6native6detailL51split_with_sizes_copy_out_contiguous_no_cast_kernelEPPcS3_PlS4_S4_ll,comdat
.Lfunc_end0:
	.size	_ZN2at6native6detailL51split_with_sizes_copy_out_contiguous_no_cast_kernelEPPcS3_PlS4_S4_ll, .Lfunc_end0-_ZN2at6native6detailL51split_with_sizes_copy_out_contiguous_no_cast_kernelEPPcS3_PlS4_S4_ll
                                        ; -- End function
	.set _ZN2at6native6detailL51split_with_sizes_copy_out_contiguous_no_cast_kernelEPPcS3_PlS4_S4_ll.num_vgpr, 28
	.set _ZN2at6native6detailL51split_with_sizes_copy_out_contiguous_no_cast_kernelEPPcS3_PlS4_S4_ll.num_agpr, 0
	.set _ZN2at6native6detailL51split_with_sizes_copy_out_contiguous_no_cast_kernelEPPcS3_PlS4_S4_ll.numbered_sgpr, 35
	.set _ZN2at6native6detailL51split_with_sizes_copy_out_contiguous_no_cast_kernelEPPcS3_PlS4_S4_ll.num_named_barrier, 0
	.set _ZN2at6native6detailL51split_with_sizes_copy_out_contiguous_no_cast_kernelEPPcS3_PlS4_S4_ll.private_seg_size, 0
	.set _ZN2at6native6detailL51split_with_sizes_copy_out_contiguous_no_cast_kernelEPPcS3_PlS4_S4_ll.uses_vcc, 1
	.set _ZN2at6native6detailL51split_with_sizes_copy_out_contiguous_no_cast_kernelEPPcS3_PlS4_S4_ll.uses_flat_scratch, 0
	.set _ZN2at6native6detailL51split_with_sizes_copy_out_contiguous_no_cast_kernelEPPcS3_PlS4_S4_ll.has_dyn_sized_stack, 0
	.set _ZN2at6native6detailL51split_with_sizes_copy_out_contiguous_no_cast_kernelEPPcS3_PlS4_S4_ll.has_recursion, 0
	.set _ZN2at6native6detailL51split_with_sizes_copy_out_contiguous_no_cast_kernelEPPcS3_PlS4_S4_ll.has_indirect_call, 0
	.section	.AMDGPU.csdata,"",@progbits
; Kernel info:
; codeLenInByte = 940
; TotalNumSgprs: 41
; NumVgprs: 28
; NumAgprs: 0
; TotalNumVgprs: 28
; ScratchSize: 0
; MemoryBound: 0
; FloatMode: 240
; IeeeMode: 1
; LDSByteSize: 0 bytes/workgroup (compile time only)
; SGPRBlocks: 5
; VGPRBlocks: 3
; NumSGPRsForWavesPerEU: 41
; NumVGPRsForWavesPerEU: 28
; AccumOffset: 28
; Occupancy: 8
; WaveLimiterHint : 1
; COMPUTE_PGM_RSRC2:SCRATCH_EN: 0
; COMPUTE_PGM_RSRC2:USER_SGPR: 2
; COMPUTE_PGM_RSRC2:TRAP_HANDLER: 0
; COMPUTE_PGM_RSRC2:TGID_X_EN: 1
; COMPUTE_PGM_RSRC2:TGID_Y_EN: 1
; COMPUTE_PGM_RSRC2:TGID_Z_EN: 0
; COMPUTE_PGM_RSRC2:TIDIG_COMP_CNT: 0
; COMPUTE_PGM_RSRC3_GFX90A:ACCUM_OFFSET: 6
; COMPUTE_PGM_RSRC3_GFX90A:TG_SPLIT: 0
	.section	.text._ZN2at6native6detailL21chunk_cat_cuda_kernelIccEEvPPT0_PT_PlS8_S8_S8_S8_S8_lll,"axG",@progbits,_ZN2at6native6detailL21chunk_cat_cuda_kernelIccEEvPPT0_PT_PlS8_S8_S8_S8_S8_lll,comdat
	.globl	_ZN2at6native6detailL21chunk_cat_cuda_kernelIccEEvPPT0_PT_PlS8_S8_S8_S8_S8_lll ; -- Begin function _ZN2at6native6detailL21chunk_cat_cuda_kernelIccEEvPPT0_PT_PlS8_S8_S8_S8_S8_lll
	.p2align	8
	.type	_ZN2at6native6detailL21chunk_cat_cuda_kernelIccEEvPPT0_PT_PlS8_S8_S8_S8_S8_lll,@function
_ZN2at6native6detailL21chunk_cat_cuda_kernelIccEEvPPT0_PT_PlS8_S8_S8_S8_S8_lll: ; @_ZN2at6native6detailL21chunk_cat_cuda_kernelIccEEvPPT0_PT_PlS8_S8_S8_S8_S8_lll
; %bb.0:
	s_load_dwordx16 s[8:23], s[0:1], 0x0
	s_mov_b32 s5, s3
	s_mov_b32 s3, 0
	s_lshl_b64 s[6:7], s[2:3], 3
	s_waitcnt lgkmcnt(0)
	s_add_u32 s6, s12, s6
	s_addc_u32 s7, s13, s7
	s_load_dwordx2 s[6:7], s[6:7], 0x0
	s_waitcnt lgkmcnt(0)
	s_lshl_b64 s[26:27], s[6:7], 3
	s_add_u32 s28, s16, s26
	s_addc_u32 s29, s17, s27
	s_add_u32 s12, s22, s26
	s_addc_u32 s13, s23, s27
	;; [unrolled: 2-line block ×5, first 2 shown]
	s_load_dwordx2 s[6:7], s[16:17], 0x0
	s_load_dwordx2 s[8:9], s[0:1], 0x50
	s_waitcnt lgkmcnt(0)
	s_mul_i32 s16, s7, s5
	s_mul_hi_u32 s17, s6, s5
	s_add_i32 s23, s17, s16
	s_mul_i32 s22, s6, s5
	s_or_b64 s[16:17], s[22:23], s[8:9]
	s_mov_b32 s16, s3
	s_cmp_lg_u64 s[16:17], 0
	s_cbranch_scc0 .LBB1_26
; %bb.1:
	s_ashr_i32 s16, s9, 31
	s_add_u32 s18, s8, s16
	s_mov_b32 s17, s16
	s_addc_u32 s19, s9, s16
	s_xor_b64 s[18:19], s[18:19], s[16:17]
	v_cvt_f32_u32_e32 v1, s18
	v_cvt_f32_u32_e32 v2, s19
	s_sub_u32 s33, 0, s18
	s_subb_u32 s36, 0, s19
	v_fmamk_f32 v1, v2, 0x4f800000, v1
	v_rcp_f32_e32 v1, v1
	s_nop 0
	v_mul_f32_e32 v1, 0x5f7ffffc, v1
	v_mul_f32_e32 v2, 0x2f800000, v1
	v_trunc_f32_e32 v2, v2
	v_fmamk_f32 v1, v2, 0xcf800000, v1
	v_cvt_u32_f32_e32 v2, v2
	v_cvt_u32_f32_e32 v1, v1
	v_readfirstlane_b32 s37, v2
	v_readfirstlane_b32 s20, v1
	s_mul_i32 s21, s33, s37
	s_mul_hi_u32 s39, s33, s20
	s_mul_i32 s38, s36, s20
	s_add_i32 s21, s39, s21
	s_add_i32 s21, s21, s38
	s_mul_i32 s40, s33, s20
	s_mul_i32 s39, s20, s21
	s_mul_hi_u32 s41, s20, s40
	s_mul_hi_u32 s38, s20, s21
	s_add_u32 s39, s41, s39
	s_addc_u32 s38, 0, s38
	s_mul_hi_u32 s42, s37, s40
	s_mul_i32 s40, s37, s40
	s_add_u32 s39, s39, s40
	s_mul_hi_u32 s41, s37, s21
	s_addc_u32 s38, s38, s42
	s_addc_u32 s39, s41, 0
	s_mul_i32 s21, s37, s21
	s_add_u32 s21, s38, s21
	s_addc_u32 s38, 0, s39
	s_add_u32 s39, s20, s21
	s_cselect_b64 s[20:21], -1, 0
	s_cmp_lg_u64 s[20:21], 0
	s_addc_u32 s37, s37, s38
	s_mul_i32 s20, s33, s37
	s_mul_hi_u32 s21, s33, s39
	s_add_i32 s20, s21, s20
	s_mul_i32 s36, s36, s39
	s_add_i32 s20, s20, s36
	s_mul_i32 s33, s33, s39
	s_mul_hi_u32 s36, s37, s33
	s_mul_i32 s38, s37, s33
	s_mul_i32 s41, s39, s20
	s_mul_hi_u32 s33, s39, s33
	s_mul_hi_u32 s40, s39, s20
	s_add_u32 s33, s33, s41
	s_addc_u32 s40, 0, s40
	s_add_u32 s33, s33, s38
	s_mul_hi_u32 s21, s37, s20
	s_addc_u32 s33, s40, s36
	s_addc_u32 s21, s21, 0
	s_mul_i32 s20, s37, s20
	s_add_u32 s20, s33, s20
	s_addc_u32 s33, 0, s21
	s_add_u32 s38, s39, s20
	s_cselect_b64 s[20:21], -1, 0
	s_cmp_lg_u64 s[20:21], 0
	s_addc_u32 s33, s37, s33
	s_ashr_i32 s20, s23, 31
	s_add_u32 s36, s22, s20
	s_mov_b32 s21, s20
	s_addc_u32 s37, s23, s20
	s_xor_b64 s[36:37], s[36:37], s[20:21]
	s_mul_i32 s39, s36, s33
	s_mul_hi_u32 s40, s36, s38
	s_mul_hi_u32 s23, s36, s33
	s_add_u32 s39, s40, s39
	s_addc_u32 s23, 0, s23
	s_mul_hi_u32 s41, s37, s38
	s_mul_i32 s38, s37, s38
	s_add_u32 s38, s39, s38
	s_mul_hi_u32 s40, s37, s33
	s_addc_u32 s23, s23, s41
	s_addc_u32 s38, s40, 0
	s_mul_i32 s33, s37, s33
	s_add_u32 s23, s23, s33
	s_addc_u32 s33, 0, s38
	s_mul_i32 s38, s18, s33
	s_mul_hi_u32 s39, s18, s23
	s_add_i32 s38, s39, s38
	s_mul_i32 s39, s19, s23
	s_add_i32 s42, s38, s39
	s_sub_i32 s40, s37, s42
	s_mul_i32 s38, s18, s23
	s_sub_u32 s36, s36, s38
	s_cselect_b64 s[38:39], -1, 0
	s_cmp_lg_u64 s[38:39], 0
	s_subb_u32 s43, s40, s19
	s_sub_u32 s44, s36, s18
	s_cselect_b64 s[40:41], -1, 0
	s_cmp_lg_u64 s[40:41], 0
	s_subb_u32 s40, s43, 0
	s_cmp_ge_u32 s40, s19
	s_cselect_b32 s41, -1, 0
	s_cmp_ge_u32 s44, s18
	s_cselect_b32 s43, -1, 0
	s_cmp_eq_u32 s40, s19
	s_cselect_b32 s40, s43, s41
	s_add_u32 s41, s23, 1
	s_addc_u32 s43, s33, 0
	s_add_u32 s44, s23, 2
	s_addc_u32 s45, s33, 0
	s_cmp_lg_u32 s40, 0
	s_cselect_b32 s40, s44, s41
	s_cselect_b32 s41, s45, s43
	s_cmp_lg_u64 s[38:39], 0
	s_subb_u32 s37, s37, s42
	s_cmp_ge_u32 s37, s19
	s_cselect_b32 s38, -1, 0
	s_cmp_ge_u32 s36, s18
	s_cselect_b32 s18, -1, 0
	s_cmp_eq_u32 s37, s19
	s_cselect_b32 s18, s18, s38
	s_cmp_lg_u32 s18, 0
	s_cselect_b32 s19, s41, s33
	s_cselect_b32 s18, s40, s23
	s_xor_b64 s[16:17], s[20:21], s[16:17]
	s_xor_b64 s[18:19], s[18:19], s[16:17]
	s_sub_u32 s20, s18, s16
	s_subb_u32 s21, s19, s17
	s_load_dwordx4 s[16:19], s[0:1], 0x40
	v_cvt_f32_u32_e32 v1, s8
	s_cbranch_execnz .LBB1_3
.LBB1_2:
	v_rcp_iflag_f32_e32 v2, v1
	s_sub_i32 s0, 0, s8
	s_mov_b32 s21, 0
	v_mul_f32_e32 v2, 0x4f7ffffe, v2
	v_cvt_u32_f32_e32 v2, v2
	s_nop 0
	v_readfirstlane_b32 s1, v2
	s_mul_i32 s0, s0, s1
	s_mul_hi_u32 s0, s1, s0
	s_add_i32 s1, s1, s0
	s_mul_hi_u32 s0, s22, s1
	s_mul_i32 s20, s0, s8
	s_sub_i32 s20, s22, s20
	s_add_i32 s1, s0, 1
	s_sub_i32 s22, s20, s8
	s_cmp_ge_u32 s20, s8
	s_cselect_b32 s0, s1, s0
	s_cselect_b32 s20, s22, s20
	s_add_i32 s1, s0, 1
	s_cmp_ge_u32 s20, s8
	s_cselect_b32 s20, s1, s0
.LBB1_3:
	s_add_u32 s14, s14, s26
	s_load_dwordx2 s[22:23], s[28:29], 0x0
	s_load_dwordx2 s[0:1], s[30:31], 0x0
	;; [unrolled: 1-line block ×3, first 2 shown]
	s_addc_u32 s15, s15, s27
	s_load_dwordx2 s[14:15], s[14:15], 0x0
	s_or_b64 s[26:27], s[6:7], s[8:9]
	s_mov_b32 s26, 0
	s_cmp_lg_u64 s[26:27], 0
	s_cbranch_scc0 .LBB1_27
; %bb.4:
	s_ashr_i32 s28, s9, 31
	s_add_u32 s26, s8, s28
	s_mov_b32 s29, s28
	s_addc_u32 s27, s9, s28
	s_xor_b64 s[30:31], s[26:27], s[28:29]
	v_cvt_f32_u32_e32 v2, s30
	v_cvt_f32_u32_e32 v3, s31
	s_sub_u32 s9, 0, s30
	s_subb_u32 s33, 0, s31
	v_fmamk_f32 v2, v3, 0x4f800000, v2
	v_rcp_f32_e32 v2, v2
	s_nop 0
	v_mul_f32_e32 v2, 0x5f7ffffc, v2
	v_mul_f32_e32 v3, 0x2f800000, v2
	v_trunc_f32_e32 v3, v3
	v_fmamk_f32 v2, v3, 0xcf800000, v2
	v_cvt_u32_f32_e32 v3, v3
	v_cvt_u32_f32_e32 v2, v2
	v_readfirstlane_b32 s36, v3
	v_readfirstlane_b32 s34, v2
	s_mul_i32 s35, s9, s36
	s_mul_hi_u32 s38, s9, s34
	s_mul_i32 s37, s33, s34
	s_add_i32 s35, s38, s35
	s_add_i32 s35, s35, s37
	s_mul_i32 s39, s9, s34
	s_mul_i32 s38, s34, s35
	s_mul_hi_u32 s40, s34, s39
	s_mul_hi_u32 s37, s34, s35
	s_add_u32 s38, s40, s38
	s_addc_u32 s37, 0, s37
	s_mul_hi_u32 s41, s36, s39
	s_mul_i32 s39, s36, s39
	s_add_u32 s38, s38, s39
	s_mul_hi_u32 s40, s36, s35
	s_addc_u32 s37, s37, s41
	s_addc_u32 s38, s40, 0
	s_mul_i32 s35, s36, s35
	s_add_u32 s35, s37, s35
	s_addc_u32 s37, 0, s38
	s_add_u32 s38, s34, s35
	s_cselect_b64 s[34:35], -1, 0
	s_cmp_lg_u64 s[34:35], 0
	s_addc_u32 s36, s36, s37
	s_mul_i32 s34, s9, s36
	s_mul_hi_u32 s35, s9, s38
	s_add_i32 s34, s35, s34
	s_mul_i32 s33, s33, s38
	s_add_i32 s34, s34, s33
	s_mul_i32 s9, s9, s38
	s_mul_hi_u32 s35, s36, s9
	s_mul_i32 s37, s36, s9
	s_mul_i32 s40, s38, s34
	s_mul_hi_u32 s9, s38, s9
	s_mul_hi_u32 s39, s38, s34
	s_add_u32 s9, s9, s40
	s_addc_u32 s39, 0, s39
	s_add_u32 s9, s9, s37
	s_mul_hi_u32 s33, s36, s34
	s_addc_u32 s9, s39, s35
	s_addc_u32 s33, s33, 0
	s_mul_i32 s34, s36, s34
	s_add_u32 s9, s9, s34
	s_addc_u32 s33, 0, s33
	s_add_u32 s9, s38, s9
	s_cselect_b64 s[34:35], -1, 0
	s_cmp_lg_u64 s[34:35], 0
	s_addc_u32 s33, s36, s33
	s_ashr_i32 s34, s7, 31
	s_add_u32 s36, s6, s34
	s_mov_b32 s35, s34
	s_addc_u32 s37, s7, s34
	s_xor_b64 s[36:37], s[36:37], s[34:35]
	s_mul_i32 s39, s36, s33
	s_mul_hi_u32 s40, s36, s9
	s_mul_hi_u32 s38, s36, s33
	s_add_u32 s39, s40, s39
	s_addc_u32 s38, 0, s38
	s_mul_hi_u32 s41, s37, s9
	s_mul_i32 s9, s37, s9
	s_add_u32 s9, s39, s9
	s_mul_hi_u32 s40, s37, s33
	s_addc_u32 s9, s38, s41
	s_addc_u32 s38, s40, 0
	s_mul_i32 s33, s37, s33
	s_add_u32 s9, s9, s33
	s_addc_u32 s33, 0, s38
	s_mul_i32 s38, s30, s33
	s_mul_hi_u32 s39, s30, s9
	s_add_i32 s38, s39, s38
	s_mul_i32 s39, s31, s9
	s_add_i32 s42, s38, s39
	s_sub_i32 s40, s37, s42
	s_mul_i32 s38, s30, s9
	s_sub_u32 s36, s36, s38
	s_cselect_b64 s[38:39], -1, 0
	s_cmp_lg_u64 s[38:39], 0
	s_subb_u32 s43, s40, s31
	s_sub_u32 s44, s36, s30
	s_cselect_b64 s[40:41], -1, 0
	s_cmp_lg_u64 s[40:41], 0
	s_subb_u32 s40, s43, 0
	s_cmp_ge_u32 s40, s31
	s_cselect_b32 s41, -1, 0
	s_cmp_ge_u32 s44, s30
	s_cselect_b32 s43, -1, 0
	s_cmp_eq_u32 s40, s31
	s_cselect_b32 s40, s43, s41
	s_add_u32 s41, s9, 1
	s_addc_u32 s43, s33, 0
	s_add_u32 s44, s9, 2
	s_addc_u32 s45, s33, 0
	s_cmp_lg_u32 s40, 0
	s_cselect_b32 s40, s44, s41
	s_cselect_b32 s41, s45, s43
	s_cmp_lg_u64 s[38:39], 0
	s_subb_u32 s37, s37, s42
	s_cmp_ge_u32 s37, s31
	s_cselect_b32 s38, -1, 0
	s_cmp_ge_u32 s36, s30
	s_cselect_b32 s30, -1, 0
	s_cmp_eq_u32 s37, s31
	s_cselect_b32 s30, s30, s38
	s_cmp_lg_u32 s30, 0
	s_cselect_b32 s31, s41, s33
	s_cselect_b32 s30, s40, s9
	s_xor_b64 s[28:29], s[34:35], s[28:29]
	s_xor_b64 s[30:31], s[30:31], s[28:29]
	s_sub_u32 s30, s30, s28
	s_subb_u32 s31, s31, s29
	s_load_dwordx2 s[28:29], s[12:13], 0x0
	s_cbranch_execnz .LBB1_6
.LBB1_5:
	v_rcp_iflag_f32_e32 v1, v1
	s_sub_i32 s9, 0, s8
	s_mov_b32 s31, 0
	v_mul_f32_e32 v1, 0x4f7ffffe, v1
	v_cvt_u32_f32_e32 v1, v1
	s_nop 0
	v_readfirstlane_b32 s12, v1
	s_mul_i32 s9, s9, s12
	s_mul_hi_u32 s9, s12, s9
	s_add_i32 s12, s12, s9
	s_mul_hi_u32 s9, s6, s12
	s_mul_i32 s13, s9, s8
	s_sub_i32 s13, s6, s13
	s_add_i32 s12, s9, 1
	s_sub_i32 s26, s13, s8
	s_cmp_ge_u32 s13, s8
	s_cselect_b32 s9, s12, s9
	s_cselect_b32 s13, s26, s13
	s_add_i32 s12, s9, 1
	s_cmp_ge_u32 s13, s8
	s_cselect_b32 s30, s12, s9
.LBB1_6:
	s_waitcnt lgkmcnt(0)
	s_mul_i32 s8, s25, s4
	s_mul_hi_u32 s9, s24, s4
	s_add_i32 s37, s9, s8
	s_mul_i32 s38, s24, s4
	s_add_u32 s8, s0, s38
	s_addc_u32 s9, s1, s37
	s_add_u32 s8, s8, s20
	s_mul_i32 s12, s17, s4
	s_mul_hi_u32 s13, s16, s4
	s_addc_u32 s9, s9, s21
	s_add_i32 s33, s13, s12
	s_mul_i32 s34, s16, s4
	s_add_u32 s4, s10, s34
	s_mul_i32 s13, s19, s5
	s_mul_hi_u32 s16, s18, s5
	s_addc_u32 s12, s11, s33
	s_add_i32 s35, s16, s13
	s_mul_i32 s36, s18, s5
	s_add_u32 s4, s4, s36
	s_addc_u32 s5, s12, s35
	s_add_u32 s4, s4, s14
	s_addc_u32 s5, s5, s15
	s_sub_u32 s16, s2, s22
	s_subb_u32 s17, 0, s23
	s_lshl_b64 s[12:13], s[28:29], 7
	s_lshl_b64 s[16:17], s[16:17], 7
	v_mov_b32_e32 v1, 0
	v_lshl_add_u64 v[2:3], s[16:17], 0, v[0:1]
	s_sub_u32 s16, s24, s20
	s_subb_u32 s17, s25, s21
	v_cmp_gt_i64_e64 s[18:19], s[16:17], 0
	s_and_b64 s[18:19], s[18:19], exec
	s_cselect_b32 s18, s17, 0
	s_cselect_b32 s19, s16, 0
	v_mov_b32_e32 v4, s19
	v_mov_b32_e32 v5, s18
	v_cmp_lt_i64_e32 vcc, s[30:31], v[4:5]
	v_mov_b64_e32 v[4:5], s[12:13]
	s_and_b64 s[16:17], vcc, exec
	v_cmp_ge_i64_e32 vcc, s[6:7], v[4:5]
	s_cselect_b32 s17, s31, s18
	s_cselect_b32 s16, s30, s19
	s_mov_b64 s[18:19], -1
	s_cbranch_vccz .LBB1_20
; %bb.7:
	s_add_u32 s18, s4, 15
	s_addc_u32 s19, s5, 0
	s_ashr_i32 s24, s19, 31
	s_lshr_b32 s24, s24, 28
	s_add_u32 s18, s18, s24
	s_addc_u32 s30, s19, 0
	s_and_b32 s31, s18, -16
	s_sub_u32 s24, s31, s4
	s_subb_u32 s25, s30, s5
	s_sub_u32 s18, s16, s24
	s_subb_u32 s19, s17, s25
	s_ashr_i32 s26, s19, 31
	s_lshr_b32 s26, s26, 28
	s_add_u32 s18, s18, s26
	s_addc_u32 s27, s19, 0
	s_and_b32 s26, s18, -16
	s_add_u32 s18, s26, s24
	v_lshlrev_b64 v[6:7], 4, v[2:3]
	s_addc_u32 s19, s27, s25
	v_cmp_gt_i64_e32 vcc, s[26:27], v[6:7]
	s_and_saveexec_b64 s[26:27], vcc
	s_cbranch_execz .LBB1_10
; %bb.8:
	s_lshl_b64 s[28:29], s[28:29], 11
	s_add_u32 s20, s20, s38
	s_addc_u32 s21, s21, s37
	s_lshl_b64 s[2:3], s[2:3], 11
	s_add_u32 s2, s20, s2
	s_addc_u32 s3, s21, s3
	s_add_u32 s2, s2, s31
	s_addc_u32 s3, s3, s30
	v_lshlrev_b32_e32 v0, 4, v0
	v_mov_b32_e32 v1, 0
	v_lshl_add_u64 v[0:1], s[2:3], 0, v[0:1]
	v_mov_b32_e32 v8, s5
	v_subrev_co_u32_e32 v0, vcc, s4, v0
	s_lshl_b64 s[2:3], s[22:23], 11
	s_nop 0
	v_subb_co_u32_e32 v1, vcc, v1, v8, vcc
	v_mov_b32_e32 v8, s3
	v_subrev_co_u32_e32 v0, vcc, s2, v0
	v_lshl_add_u64 v[4:5], s[24:25], 0, v[6:7]
	s_nop 0
	v_subb_co_u32_e32 v1, vcc, v1, v8, vcc
	v_lshl_add_u64 v[0:1], s[0:1], 0, v[0:1]
	s_add_u32 s0, s14, s36
	s_addc_u32 s1, s15, s35
	s_add_u32 s0, s0, s34
	s_addc_u32 s1, s1, s33
	;; [unrolled: 2-line block ×3, first 2 shown]
	v_lshl_add_u64 v[6:7], s[0:1], 0, v[6:7]
	v_mov_b32_e32 v8, s5
	v_subrev_co_u32_e32 v6, vcc, s4, v6
	s_mov_b64 s[0:1], 0
	s_nop 0
	v_subb_co_u32_e32 v7, vcc, v7, v8, vcc
	v_lshl_add_u64 v[6:7], s[10:11], 0, v[6:7]
	v_lshl_add_u64 v[6:7], v[6:7], 0, 8
	s_mov_b64 s[2:3], 0
.LBB1_9:                                ; =>This Inner Loop Header: Depth=1
	v_lshl_add_u64 v[8:9], v[0:1], 0, s[2:3]
	flat_load_dwordx4 v[8:11], v[8:9]
	v_lshl_add_u64 v[12:13], v[6:7], 0, s[2:3]
	v_lshl_add_u64 v[4:5], v[4:5], 0, s[28:29]
	s_add_u32 s2, s2, s28
	s_addc_u32 s3, s3, s29
	v_cmp_le_i64_e32 vcc, s[18:19], v[4:5]
	s_or_b64 s[0:1], vcc, s[0:1]
	s_waitcnt vmcnt(0) lgkmcnt(0)
	global_store_dwordx4 v[12:13], v[8:11], off offset:-8
	s_andn2_b64 exec, exec, s[0:1]
	s_cbranch_execnz .LBB1_9
.LBB1_10:
	s_or_b64 exec, exec, s[26:27]
	v_cmp_gt_i64_e32 vcc, s[24:25], v[2:3]
	v_cmp_gt_i64_e64 s[0:1], s[6:7], v[2:3]
	s_and_b64 s[2:3], s[0:1], vcc
	s_and_saveexec_b64 s[0:1], s[2:3]
	s_cbranch_execz .LBB1_14
; %bb.11:
	v_cmp_gt_i64_e32 vcc, s[16:17], v[2:3]
	v_mov_b32_e32 v0, 0
	s_and_saveexec_b64 s[2:3], vcc
	s_cbranch_execz .LBB1_13
; %bb.12:
	v_lshl_add_u64 v[0:1], s[8:9], 0, v[2:3]
	flat_load_ubyte v0, v[0:1]
.LBB1_13:
	s_or_b64 exec, exec, s[2:3]
	v_lshl_add_u64 v[4:5], s[4:5], 0, v[2:3]
	s_waitcnt vmcnt(0) lgkmcnt(0)
	global_store_byte v[4:5], v0, off
.LBB1_14:
	s_or_b64 exec, exec, s[0:1]
	v_lshl_add_u64 v[0:1], s[18:19], 0, v[2:3]
	v_cmp_gt_i64_e32 vcc, s[6:7], v[0:1]
	s_and_saveexec_b64 s[0:1], vcc
	s_cbranch_execz .LBB1_19
; %bb.15:
	s_mov_b64 s[2:3], 0
	s_branch .LBB1_17
.LBB1_16:                               ;   in Loop: Header=BB1_17 Depth=1
	s_or_b64 exec, exec, s[10:11]
	s_add_u32 s18, s18, s12
	s_addc_u32 s19, s19, s13
	v_lshl_add_u64 v[6:7], s[4:5], 0, v[0:1]
	v_lshl_add_u64 v[0:1], s[18:19], 0, v[2:3]
	v_cmp_le_i64_e32 vcc, s[6:7], v[0:1]
	s_or_b64 s[2:3], vcc, s[2:3]
	s_waitcnt vmcnt(0) lgkmcnt(0)
	global_store_byte v[6:7], v4, off
	s_andn2_b64 exec, exec, s[2:3]
	s_cbranch_execz .LBB1_19
.LBB1_17:                               ; =>This Inner Loop Header: Depth=1
	v_cmp_gt_i64_e32 vcc, s[16:17], v[0:1]
	v_mov_b32_e32 v4, 0
	s_and_saveexec_b64 s[10:11], vcc
	s_cbranch_execz .LBB1_16
; %bb.18:                               ;   in Loop: Header=BB1_17 Depth=1
	v_lshl_add_u64 v[4:5], s[8:9], 0, v[0:1]
	flat_load_ubyte v4, v[4:5]
	s_branch .LBB1_16
.LBB1_19:
	s_or_b64 exec, exec, s[0:1]
	s_mov_b64 s[18:19], 0
.LBB1_20:
	s_and_b64 vcc, exec, s[18:19]
	s_cbranch_vccz .LBB1_25
; %bb.21:
	v_cmp_gt_i64_e32 vcc, s[16:17], v[2:3]
	v_mov_b32_e32 v0, 0
	s_and_saveexec_b64 s[0:1], vcc
	s_cbranch_execz .LBB1_23
; %bb.22:
	v_lshl_add_u64 v[0:1], s[8:9], 0, v[2:3]
	flat_load_ubyte v0, v[0:1]
.LBB1_23:
	s_or_b64 exec, exec, s[0:1]
	v_cmp_gt_i64_e32 vcc, s[6:7], v[2:3]
	s_and_saveexec_b64 s[0:1], vcc
	s_cbranch_execz .LBB1_25
; %bb.24:
	v_lshl_add_u64 v[2:3], s[4:5], 0, v[2:3]
	s_waitcnt vmcnt(0) lgkmcnt(0)
	global_store_byte v[2:3], v0, off
.LBB1_25:
	s_endpgm
.LBB1_26:
                                        ; implicit-def: $sgpr20_sgpr21
	s_load_dwordx4 s[16:19], s[0:1], 0x40
	v_cvt_f32_u32_e32 v1, s8
	s_branch .LBB1_2
.LBB1_27:
                                        ; implicit-def: $sgpr30_sgpr31
	s_load_dwordx2 s[28:29], s[12:13], 0x0
	s_branch .LBB1_5
	.section	.rodata,"a",@progbits
	.p2align	6, 0x0
	.amdhsa_kernel _ZN2at6native6detailL21chunk_cat_cuda_kernelIccEEvPPT0_PT_PlS8_S8_S8_S8_S8_lll
		.amdhsa_group_segment_fixed_size 0
		.amdhsa_private_segment_fixed_size 0
		.amdhsa_kernarg_size 88
		.amdhsa_user_sgpr_count 2
		.amdhsa_user_sgpr_dispatch_ptr 0
		.amdhsa_user_sgpr_queue_ptr 0
		.amdhsa_user_sgpr_kernarg_segment_ptr 1
		.amdhsa_user_sgpr_dispatch_id 0
		.amdhsa_user_sgpr_kernarg_preload_length 0
		.amdhsa_user_sgpr_kernarg_preload_offset 0
		.amdhsa_user_sgpr_private_segment_size 0
		.amdhsa_uses_dynamic_stack 0
		.amdhsa_enable_private_segment 0
		.amdhsa_system_sgpr_workgroup_id_x 1
		.amdhsa_system_sgpr_workgroup_id_y 1
		.amdhsa_system_sgpr_workgroup_id_z 1
		.amdhsa_system_sgpr_workgroup_info 0
		.amdhsa_system_vgpr_workitem_id 0
		.amdhsa_next_free_vgpr 14
		.amdhsa_next_free_sgpr 46
		.amdhsa_accum_offset 16
		.amdhsa_reserve_vcc 1
		.amdhsa_float_round_mode_32 0
		.amdhsa_float_round_mode_16_64 0
		.amdhsa_float_denorm_mode_32 3
		.amdhsa_float_denorm_mode_16_64 3
		.amdhsa_dx10_clamp 1
		.amdhsa_ieee_mode 1
		.amdhsa_fp16_overflow 0
		.amdhsa_tg_split 0
		.amdhsa_exception_fp_ieee_invalid_op 0
		.amdhsa_exception_fp_denorm_src 0
		.amdhsa_exception_fp_ieee_div_zero 0
		.amdhsa_exception_fp_ieee_overflow 0
		.amdhsa_exception_fp_ieee_underflow 0
		.amdhsa_exception_fp_ieee_inexact 0
		.amdhsa_exception_int_div_zero 0
	.end_amdhsa_kernel
	.section	.text._ZN2at6native6detailL21chunk_cat_cuda_kernelIccEEvPPT0_PT_PlS8_S8_S8_S8_S8_lll,"axG",@progbits,_ZN2at6native6detailL21chunk_cat_cuda_kernelIccEEvPPT0_PT_PlS8_S8_S8_S8_S8_lll,comdat
.Lfunc_end1:
	.size	_ZN2at6native6detailL21chunk_cat_cuda_kernelIccEEvPPT0_PT_PlS8_S8_S8_S8_S8_lll, .Lfunc_end1-_ZN2at6native6detailL21chunk_cat_cuda_kernelIccEEvPPT0_PT_PlS8_S8_S8_S8_S8_lll
                                        ; -- End function
	.set _ZN2at6native6detailL21chunk_cat_cuda_kernelIccEEvPPT0_PT_PlS8_S8_S8_S8_S8_lll.num_vgpr, 14
	.set _ZN2at6native6detailL21chunk_cat_cuda_kernelIccEEvPPT0_PT_PlS8_S8_S8_S8_S8_lll.num_agpr, 0
	.set _ZN2at6native6detailL21chunk_cat_cuda_kernelIccEEvPPT0_PT_PlS8_S8_S8_S8_S8_lll.numbered_sgpr, 46
	.set _ZN2at6native6detailL21chunk_cat_cuda_kernelIccEEvPPT0_PT_PlS8_S8_S8_S8_S8_lll.num_named_barrier, 0
	.set _ZN2at6native6detailL21chunk_cat_cuda_kernelIccEEvPPT0_PT_PlS8_S8_S8_S8_S8_lll.private_seg_size, 0
	.set _ZN2at6native6detailL21chunk_cat_cuda_kernelIccEEvPPT0_PT_PlS8_S8_S8_S8_S8_lll.uses_vcc, 1
	.set _ZN2at6native6detailL21chunk_cat_cuda_kernelIccEEvPPT0_PT_PlS8_S8_S8_S8_S8_lll.uses_flat_scratch, 0
	.set _ZN2at6native6detailL21chunk_cat_cuda_kernelIccEEvPPT0_PT_PlS8_S8_S8_S8_S8_lll.has_dyn_sized_stack, 0
	.set _ZN2at6native6detailL21chunk_cat_cuda_kernelIccEEvPPT0_PT_PlS8_S8_S8_S8_S8_lll.has_recursion, 0
	.set _ZN2at6native6detailL21chunk_cat_cuda_kernelIccEEvPPT0_PT_PlS8_S8_S8_S8_S8_lll.has_indirect_call, 0
	.section	.AMDGPU.csdata,"",@progbits
; Kernel info:
; codeLenInByte = 2316
; TotalNumSgprs: 52
; NumVgprs: 14
; NumAgprs: 0
; TotalNumVgprs: 14
; ScratchSize: 0
; MemoryBound: 0
; FloatMode: 240
; IeeeMode: 1
; LDSByteSize: 0 bytes/workgroup (compile time only)
; SGPRBlocks: 6
; VGPRBlocks: 1
; NumSGPRsForWavesPerEU: 52
; NumVGPRsForWavesPerEU: 14
; AccumOffset: 16
; Occupancy: 8
; WaveLimiterHint : 1
; COMPUTE_PGM_RSRC2:SCRATCH_EN: 0
; COMPUTE_PGM_RSRC2:USER_SGPR: 2
; COMPUTE_PGM_RSRC2:TRAP_HANDLER: 0
; COMPUTE_PGM_RSRC2:TGID_X_EN: 1
; COMPUTE_PGM_RSRC2:TGID_Y_EN: 1
; COMPUTE_PGM_RSRC2:TGID_Z_EN: 1
; COMPUTE_PGM_RSRC2:TIDIG_COMP_CNT: 0
; COMPUTE_PGM_RSRC3_GFX90A:ACCUM_OFFSET: 3
; COMPUTE_PGM_RSRC3_GFX90A:TG_SPLIT: 0
	.section	.text._ZN2at6native6detailL21chunk_cat_cuda_kernelIfN3c108BFloat16EEEvPPT0_PT_PlSA_SA_SA_SA_SA_lll,"axG",@progbits,_ZN2at6native6detailL21chunk_cat_cuda_kernelIfN3c108BFloat16EEEvPPT0_PT_PlSA_SA_SA_SA_SA_lll,comdat
	.globl	_ZN2at6native6detailL21chunk_cat_cuda_kernelIfN3c108BFloat16EEEvPPT0_PT_PlSA_SA_SA_SA_SA_lll ; -- Begin function _ZN2at6native6detailL21chunk_cat_cuda_kernelIfN3c108BFloat16EEEvPPT0_PT_PlSA_SA_SA_SA_SA_lll
	.p2align	8
	.type	_ZN2at6native6detailL21chunk_cat_cuda_kernelIfN3c108BFloat16EEEvPPT0_PT_PlSA_SA_SA_SA_SA_lll,@function
_ZN2at6native6detailL21chunk_cat_cuda_kernelIfN3c108BFloat16EEEvPPT0_PT_PlSA_SA_SA_SA_SA_lll: ; @_ZN2at6native6detailL21chunk_cat_cuda_kernelIfN3c108BFloat16EEEvPPT0_PT_PlSA_SA_SA_SA_SA_lll
; %bb.0:
	s_load_dwordx16 s[8:23], s[0:1], 0x0
	s_mov_b32 s5, s3
	s_mov_b32 s3, 0
	s_lshl_b64 s[6:7], s[2:3], 3
	s_waitcnt lgkmcnt(0)
	s_add_u32 s6, s12, s6
	s_addc_u32 s7, s13, s7
	s_load_dwordx2 s[6:7], s[6:7], 0x0
	s_waitcnt lgkmcnt(0)
	s_lshl_b64 s[30:31], s[6:7], 3
	s_add_u32 s34, s16, s30
	s_addc_u32 s35, s17, s31
	s_add_u32 s26, s22, s30
	s_addc_u32 s27, s23, s31
	;; [unrolled: 2-line block ×5, first 2 shown]
	s_load_dwordx2 s[6:7], s[8:9], 0x0
	s_load_dwordx2 s[22:23], s[0:1], 0x50
	s_waitcnt lgkmcnt(0)
	s_mul_i32 s8, s7, s5
	s_mul_hi_u32 s9, s6, s5
	s_add_i32 s21, s9, s8
	s_mul_i32 s20, s6, s5
	s_or_b64 s[8:9], s[20:21], s[22:23]
	s_mov_b32 s8, s3
	s_cmp_lg_u64 s[8:9], 0
	s_cbranch_scc0 .LBB2_14
; %bb.1:
	s_ashr_i32 s8, s23, 31
	s_add_u32 s16, s22, s8
	s_mov_b32 s9, s8
	s_addc_u32 s17, s23, s8
	s_xor_b64 s[16:17], s[16:17], s[8:9]
	v_cvt_f32_u32_e32 v1, s16
	v_cvt_f32_u32_e32 v2, s17
	s_sub_u32 s28, 0, s16
	s_subb_u32 s29, 0, s17
	v_fmamk_f32 v1, v2, 0x4f800000, v1
	v_rcp_f32_e32 v1, v1
	s_nop 0
	v_mul_f32_e32 v1, 0x5f7ffffc, v1
	v_mul_f32_e32 v2, 0x2f800000, v1
	v_trunc_f32_e32 v2, v2
	v_fmamk_f32 v1, v2, 0xcf800000, v1
	v_cvt_u32_f32_e32 v2, v2
	v_cvt_u32_f32_e32 v1, v1
	v_readfirstlane_b32 s33, v2
	v_readfirstlane_b32 s18, v1
	s_mul_i32 s19, s28, s33
	s_mul_hi_u32 s39, s28, s18
	s_mul_i32 s38, s29, s18
	s_add_i32 s19, s39, s19
	s_add_i32 s19, s19, s38
	s_mul_i32 s40, s28, s18
	s_mul_i32 s39, s18, s19
	s_mul_hi_u32 s41, s18, s40
	s_mul_hi_u32 s38, s18, s19
	s_add_u32 s39, s41, s39
	s_addc_u32 s38, 0, s38
	s_mul_hi_u32 s42, s33, s40
	s_mul_i32 s40, s33, s40
	s_add_u32 s39, s39, s40
	s_mul_hi_u32 s41, s33, s19
	s_addc_u32 s38, s38, s42
	s_addc_u32 s39, s41, 0
	s_mul_i32 s19, s33, s19
	s_add_u32 s19, s38, s19
	s_addc_u32 s38, 0, s39
	s_add_u32 s39, s18, s19
	s_cselect_b64 s[18:19], -1, 0
	s_cmp_lg_u64 s[18:19], 0
	s_addc_u32 s33, s33, s38
	s_mul_i32 s18, s28, s33
	s_mul_hi_u32 s19, s28, s39
	s_add_i32 s18, s19, s18
	s_mul_i32 s29, s29, s39
	s_add_i32 s18, s18, s29
	s_mul_i32 s28, s28, s39
	s_mul_hi_u32 s29, s33, s28
	s_mul_i32 s38, s33, s28
	s_mul_i32 s41, s39, s18
	s_mul_hi_u32 s28, s39, s28
	s_mul_hi_u32 s40, s39, s18
	s_add_u32 s28, s28, s41
	s_addc_u32 s40, 0, s40
	s_add_u32 s28, s28, s38
	s_mul_hi_u32 s19, s33, s18
	s_addc_u32 s28, s40, s29
	s_addc_u32 s19, s19, 0
	s_mul_i32 s18, s33, s18
	s_add_u32 s18, s28, s18
	s_addc_u32 s28, 0, s19
	s_add_u32 s38, s39, s18
	s_cselect_b64 s[18:19], -1, 0
	s_cmp_lg_u64 s[18:19], 0
	s_addc_u32 s33, s33, s28
	s_ashr_i32 s18, s21, 31
	s_add_u32 s28, s20, s18
	s_mov_b32 s19, s18
	s_addc_u32 s29, s21, s18
	s_xor_b64 s[28:29], s[28:29], s[18:19]
	s_mul_i32 s39, s28, s33
	s_mul_hi_u32 s40, s28, s38
	s_mul_hi_u32 s21, s28, s33
	s_add_u32 s39, s40, s39
	s_addc_u32 s21, 0, s21
	s_mul_hi_u32 s41, s29, s38
	s_mul_i32 s38, s29, s38
	s_add_u32 s38, s39, s38
	s_mul_hi_u32 s40, s29, s33
	s_addc_u32 s21, s21, s41
	s_addc_u32 s38, s40, 0
	s_mul_i32 s33, s29, s33
	s_add_u32 s21, s21, s33
	s_addc_u32 s33, 0, s38
	s_mul_i32 s38, s16, s33
	s_mul_hi_u32 s39, s16, s21
	s_add_i32 s38, s39, s38
	s_mul_i32 s39, s17, s21
	s_add_i32 s42, s38, s39
	s_sub_i32 s40, s29, s42
	s_mul_i32 s38, s16, s21
	s_sub_u32 s28, s28, s38
	s_cselect_b64 s[38:39], -1, 0
	s_cmp_lg_u64 s[38:39], 0
	s_subb_u32 s43, s40, s17
	s_sub_u32 s44, s28, s16
	s_cselect_b64 s[40:41], -1, 0
	s_cmp_lg_u64 s[40:41], 0
	s_subb_u32 s40, s43, 0
	s_cmp_ge_u32 s40, s17
	s_cselect_b32 s41, -1, 0
	s_cmp_ge_u32 s44, s16
	s_cselect_b32 s43, -1, 0
	s_cmp_eq_u32 s40, s17
	s_cselect_b32 s40, s43, s41
	s_add_u32 s41, s21, 1
	s_addc_u32 s43, s33, 0
	s_add_u32 s44, s21, 2
	s_addc_u32 s45, s33, 0
	s_cmp_lg_u32 s40, 0
	s_cselect_b32 s40, s44, s41
	s_cselect_b32 s41, s45, s43
	s_cmp_lg_u64 s[38:39], 0
	s_subb_u32 s29, s29, s42
	s_cmp_ge_u32 s29, s17
	s_cselect_b32 s38, -1, 0
	s_cmp_ge_u32 s28, s16
	s_cselect_b32 s16, -1, 0
	s_cmp_eq_u32 s29, s17
	s_cselect_b32 s16, s16, s38
	s_cmp_lg_u32 s16, 0
	s_cselect_b32 s17, s41, s33
	s_cselect_b32 s16, s40, s21
	s_xor_b64 s[8:9], s[18:19], s[8:9]
	s_xor_b64 s[16:17], s[16:17], s[8:9]
	s_sub_u32 s8, s16, s8
	s_subb_u32 s9, s17, s9
	s_load_dwordx4 s[16:19], s[0:1], 0x40
	v_cvt_f32_u32_e32 v1, s22
	s_cbranch_execnz .LBB2_3
.LBB2_2:
	v_rcp_iflag_f32_e32 v2, v1
	s_sub_i32 s0, 0, s22
	s_mov_b32 s9, 0
	v_mul_f32_e32 v2, 0x4f7ffffe, v2
	v_cvt_u32_f32_e32 v2, v2
	s_nop 0
	v_readfirstlane_b32 s1, v2
	s_mul_i32 s0, s0, s1
	s_mul_hi_u32 s0, s1, s0
	s_add_i32 s1, s1, s0
	s_mul_hi_u32 s0, s20, s1
	s_mul_i32 s8, s0, s22
	s_sub_i32 s8, s20, s8
	s_add_i32 s1, s0, 1
	s_sub_i32 s20, s8, s22
	s_cmp_ge_u32 s8, s22
	s_cselect_b32 s0, s1, s0
	s_cselect_b32 s8, s20, s8
	s_add_i32 s1, s0, 1
	s_cmp_ge_u32 s8, s22
	s_cselect_b32 s8, s1, s0
.LBB2_3:
	s_load_dwordx2 s[24:25], s[34:35], 0x0
	s_load_dwordx2 s[28:29], s[36:37], 0x0
	s_add_u32 s0, s14, s30
	s_addc_u32 s1, s15, s31
	s_or_b64 s[14:15], s[6:7], s[22:23]
	s_mov_b32 s14, 0
	s_cmp_lg_u64 s[14:15], 0
	s_cbranch_scc0 .LBB2_15
; %bb.4:
	s_ashr_i32 s14, s23, 31
	s_add_u32 s20, s22, s14
	s_mov_b32 s15, s14
	s_addc_u32 s21, s23, s14
	s_xor_b64 s[20:21], s[20:21], s[14:15]
	v_cvt_f32_u32_e32 v2, s20
	v_cvt_f32_u32_e32 v3, s21
	s_sub_u32 s23, 0, s20
	s_subb_u32 s33, 0, s21
	v_fmamk_f32 v2, v3, 0x4f800000, v2
	v_rcp_f32_e32 v2, v2
	s_nop 0
	v_mul_f32_e32 v2, 0x5f7ffffc, v2
	v_mul_f32_e32 v3, 0x2f800000, v2
	v_trunc_f32_e32 v3, v3
	v_fmamk_f32 v2, v3, 0xcf800000, v2
	v_cvt_u32_f32_e32 v3, v3
	v_cvt_u32_f32_e32 v2, v2
	v_readfirstlane_b32 s36, v3
	v_readfirstlane_b32 s34, v2
	s_mul_i32 s35, s23, s36
	s_mul_hi_u32 s38, s23, s34
	s_mul_i32 s37, s33, s34
	s_add_i32 s35, s38, s35
	s_add_i32 s35, s35, s37
	s_mul_i32 s39, s23, s34
	s_mul_i32 s38, s34, s35
	s_mul_hi_u32 s40, s34, s39
	s_mul_hi_u32 s37, s34, s35
	s_add_u32 s38, s40, s38
	s_addc_u32 s37, 0, s37
	s_mul_hi_u32 s41, s36, s39
	s_mul_i32 s39, s36, s39
	s_add_u32 s38, s38, s39
	s_mul_hi_u32 s40, s36, s35
	s_addc_u32 s37, s37, s41
	s_addc_u32 s38, s40, 0
	s_mul_i32 s35, s36, s35
	s_add_u32 s35, s37, s35
	s_addc_u32 s37, 0, s38
	s_add_u32 s38, s34, s35
	s_cselect_b64 s[34:35], -1, 0
	s_cmp_lg_u64 s[34:35], 0
	s_addc_u32 s36, s36, s37
	s_mul_i32 s34, s23, s36
	s_mul_hi_u32 s35, s23, s38
	s_add_i32 s34, s35, s34
	s_mul_i32 s33, s33, s38
	s_add_i32 s34, s34, s33
	s_mul_i32 s23, s23, s38
	s_mul_hi_u32 s35, s36, s23
	s_mul_i32 s37, s36, s23
	s_mul_i32 s40, s38, s34
	s_mul_hi_u32 s23, s38, s23
	s_mul_hi_u32 s39, s38, s34
	s_add_u32 s23, s23, s40
	s_addc_u32 s39, 0, s39
	s_add_u32 s23, s23, s37
	s_mul_hi_u32 s33, s36, s34
	s_addc_u32 s23, s39, s35
	s_addc_u32 s33, s33, 0
	s_mul_i32 s34, s36, s34
	s_add_u32 s23, s23, s34
	s_addc_u32 s33, 0, s33
	s_add_u32 s23, s38, s23
	s_cselect_b64 s[34:35], -1, 0
	s_cmp_lg_u64 s[34:35], 0
	s_addc_u32 s33, s36, s33
	s_ashr_i32 s34, s7, 31
	s_add_u32 s36, s6, s34
	s_mov_b32 s35, s34
	s_addc_u32 s37, s7, s34
	s_xor_b64 s[36:37], s[36:37], s[34:35]
	s_mul_i32 s39, s36, s33
	s_mul_hi_u32 s40, s36, s23
	s_mul_hi_u32 s38, s36, s33
	s_add_u32 s39, s40, s39
	s_addc_u32 s38, 0, s38
	s_mul_hi_u32 s41, s37, s23
	s_mul_i32 s23, s37, s23
	s_add_u32 s23, s39, s23
	s_mul_hi_u32 s40, s37, s33
	s_addc_u32 s23, s38, s41
	s_addc_u32 s38, s40, 0
	s_mul_i32 s33, s37, s33
	s_add_u32 s23, s23, s33
	s_addc_u32 s33, 0, s38
	s_mul_i32 s38, s20, s33
	s_mul_hi_u32 s39, s20, s23
	s_add_i32 s38, s39, s38
	s_mul_i32 s39, s21, s23
	s_add_i32 s42, s38, s39
	s_sub_i32 s40, s37, s42
	s_mul_i32 s38, s20, s23
	s_sub_u32 s36, s36, s38
	s_cselect_b64 s[38:39], -1, 0
	s_cmp_lg_u64 s[38:39], 0
	s_subb_u32 s43, s40, s21
	s_sub_u32 s44, s36, s20
	s_cselect_b64 s[40:41], -1, 0
	s_cmp_lg_u64 s[40:41], 0
	s_subb_u32 s40, s43, 0
	s_cmp_ge_u32 s40, s21
	s_cselect_b32 s41, -1, 0
	s_cmp_ge_u32 s44, s20
	s_cselect_b32 s43, -1, 0
	s_cmp_eq_u32 s40, s21
	s_cselect_b32 s40, s43, s41
	s_add_u32 s41, s23, 1
	s_addc_u32 s43, s33, 0
	s_add_u32 s44, s23, 2
	s_addc_u32 s45, s33, 0
	s_cmp_lg_u32 s40, 0
	s_cselect_b32 s40, s44, s41
	s_cselect_b32 s41, s45, s43
	s_cmp_lg_u64 s[38:39], 0
	s_subb_u32 s37, s37, s42
	s_cmp_ge_u32 s37, s21
	s_cselect_b32 s38, -1, 0
	s_cmp_ge_u32 s36, s20
	s_cselect_b32 s20, -1, 0
	s_cmp_eq_u32 s37, s21
	s_cselect_b32 s20, s20, s38
	s_cmp_lg_u32 s20, 0
	s_cselect_b32 s21, s41, s33
	s_cselect_b32 s20, s40, s23
	s_xor_b64 s[14:15], s[34:35], s[14:15]
	s_xor_b64 s[20:21], s[20:21], s[14:15]
	s_sub_u32 s34, s20, s14
	s_subb_u32 s35, s21, s15
	s_load_dwordx2 s[14:15], s[26:27], 0x0
	s_load_dwordx2 s[20:21], s[0:1], 0x0
	s_cbranch_execnz .LBB2_6
.LBB2_5:
	v_rcp_iflag_f32_e32 v1, v1
	s_sub_i32 s0, 0, s22
	s_mov_b32 s35, 0
	v_mul_f32_e32 v1, 0x4f7ffffe, v1
	v_cvt_u32_f32_e32 v1, v1
	s_nop 0
	v_readfirstlane_b32 s1, v1
	s_mul_i32 s0, s0, s1
	s_mul_hi_u32 s0, s1, s0
	s_add_i32 s1, s1, s0
	s_mul_hi_u32 s0, s6, s1
	s_mul_i32 s23, s0, s22
	s_sub_i32 s23, s6, s23
	s_add_i32 s1, s0, 1
	s_sub_i32 s26, s23, s22
	s_cmp_ge_u32 s23, s22
	s_cselect_b32 s0, s1, s0
	s_cselect_b32 s23, s26, s23
	s_add_i32 s1, s0, 1
	s_cmp_ge_u32 s23, s22
	s_cselect_b32 s34, s1, s0
.LBB2_6:
	s_waitcnt lgkmcnt(0)
	s_mul_i32 s1, s17, s4
	s_mul_hi_u32 s17, s16, s4
	s_add_i32 s23, s17, s1
	s_mul_i32 s1, s19, s5
	s_mul_hi_u32 s33, s18, s5
	s_add_i32 s33, s33, s1
	s_mul_i32 s38, s18, s5
	s_sub_u32 s18, s2, s24
	s_subb_u32 s19, 0, s25
	s_mul_i32 s22, s16, s4
	s_lshl_b64 s[16:17], s[14:15], 7
	s_lshl_b64 s[18:19], s[18:19], 7
	v_mov_b32_e32 v1, 0
	v_lshl_add_u64 v[2:3], s[18:19], 0, v[0:1]
	s_sub_u32 s18, s28, s8
	s_subb_u32 s19, s29, s9
	v_cmp_gt_i64_e64 s[26:27], s[18:19], 0
	s_and_b64 s[26:27], s[26:27], exec
	s_cselect_b32 s1, s19, 0
	s_cselect_b32 s5, s18, 0
	v_mov_b32_e32 v4, s5
	v_mov_b32_e32 v5, s1
	v_cmp_lt_i64_e32 vcc, s[34:35], v[4:5]
	s_and_b64 s[18:19], vcc, exec
	s_cselect_b32 s19, s35, s1
	s_cselect_b32 s18, s34, s5
	s_lshr_b64 s[26:27], s[18:19], 1
	s_mov_b32 s0, 0
	v_cmp_gt_i64_e32 vcc, s[26:27], v[2:3]
	s_and_saveexec_b64 s[18:19], vcc
	s_cbranch_execz .LBB2_24
; %bb.7:
	s_add_u32 s30, s14, s2
	s_addc_u32 s31, s15, 0
	s_lshl_b64 s[30:31], s[30:31], 7
	v_lshl_add_u64 v[4:5], s[30:31], 0, v[0:1]
	s_lshl_b64 s[30:31], s[24:25], 7
	v_mov_b32_e32 v7, s31
	v_subrev_co_u32_e32 v6, vcc, s30, v4
	v_mov_b32_e32 v4, s27
	s_nop 0
	v_subb_co_u32_e32 v7, vcc, v5, v7, vcc
	v_cmp_gt_i64_e32 vcc, s[26:27], v[6:7]
	v_mov_b32_e32 v5, s0
	s_nop 0
	v_cndmask_b32_e32 v9, v7, v4, vcc
	v_mov_b32_e32 v4, s26
	v_cndmask_b32_e32 v8, v6, v4, vcc
	v_cndmask_b32_e64 v4, 0, 1, vcc
	v_lshl_add_u64 v[6:7], v[6:7], 0, v[4:5]
	v_sub_co_u32_e32 v8, vcc, v8, v6
	v_mov_b32_e32 v6, v1
	s_nop 0
	v_subb_co_u32_e32 v9, vcc, v9, v7, vcc
	v_or_b32_e32 v7, s17, v9
	v_cmp_ne_u64_e32 vcc, 0, v[6:7]
                                        ; implicit-def: $vgpr6_vgpr7
	s_and_saveexec_b64 s[0:1], vcc
	s_xor_b64 s[30:31], exec, s[0:1]
	s_cbranch_execz .LBB2_9
; %bb.8:
	v_cvt_f32_u32_e32 v1, s16
	v_cvt_f32_u32_e32 v6, s17
	s_sub_u32 s5, 0, s16
	s_subb_u32 s34, 0, s17
	v_mov_b32_e32 v11, 0
	v_fmamk_f32 v1, v6, 0x4f800000, v1
	v_rcp_f32_e32 v1, v1
	s_nop 0
	v_mul_f32_e32 v1, 0x5f7ffffc, v1
	v_mul_f32_e32 v6, 0x2f800000, v1
	v_trunc_f32_e32 v6, v6
	v_fmamk_f32 v1, v6, 0xcf800000, v1
	v_cvt_u32_f32_e32 v6, v6
	v_cvt_u32_f32_e32 v1, v1
	v_readfirstlane_b32 s35, v6
	v_readfirstlane_b32 s0, v1
	s_mul_i32 s1, s5, s35
	s_mul_hi_u32 s37, s5, s0
	s_mul_i32 s36, s34, s0
	s_add_i32 s1, s37, s1
	s_mul_i32 s39, s5, s0
	s_add_i32 s1, s1, s36
	s_mul_i32 s37, s0, s1
	s_mul_hi_u32 s40, s0, s39
	s_mul_hi_u32 s36, s0, s1
	s_add_u32 s37, s40, s37
	s_addc_u32 s36, 0, s36
	s_mul_hi_u32 s41, s35, s39
	s_mul_i32 s39, s35, s39
	s_add_u32 s37, s37, s39
	s_mul_hi_u32 s40, s35, s1
	s_addc_u32 s36, s36, s41
	s_addc_u32 s37, s40, 0
	s_mul_i32 s1, s35, s1
	s_add_u32 s1, s36, s1
	s_addc_u32 s36, 0, s37
	s_add_u32 s37, s0, s1
	s_cselect_b64 s[0:1], -1, 0
	s_cmp_lg_u64 s[0:1], 0
	s_addc_u32 s35, s35, s36
	s_mul_i32 s0, s5, s35
	s_mul_hi_u32 s1, s5, s37
	s_add_i32 s0, s1, s0
	s_mul_i32 s34, s34, s37
	s_add_i32 s0, s0, s34
	s_mul_i32 s5, s5, s37
	s_mul_hi_u32 s34, s35, s5
	s_mul_i32 s36, s35, s5
	s_mul_i32 s40, s37, s0
	s_mul_hi_u32 s5, s37, s5
	s_mul_hi_u32 s39, s37, s0
	s_add_u32 s5, s5, s40
	s_addc_u32 s39, 0, s39
	s_add_u32 s5, s5, s36
	s_mul_hi_u32 s1, s35, s0
	s_addc_u32 s5, s39, s34
	s_addc_u32 s1, s1, 0
	s_mul_i32 s0, s35, s0
	s_add_u32 s0, s5, s0
	s_addc_u32 s5, 0, s1
	s_add_u32 s34, s37, s0
	s_cselect_b64 s[0:1], -1, 0
	s_cmp_lg_u64 s[0:1], 0
	s_addc_u32 s5, s35, s5
	v_mad_u64_u32 v[6:7], s[0:1], v8, s5, 0
	v_mul_hi_u32 v10, v8, s34
	v_lshl_add_u64 v[6:7], v[10:11], 0, v[6:7]
	v_mad_u64_u32 v[14:15], s[0:1], v9, s34, 0
	v_add_co_u32_e32 v1, vcc, v6, v14
	v_mad_u64_u32 v[12:13], s[0:1], v9, s5, 0
	s_nop 0
	v_addc_co_u32_e32 v10, vcc, v7, v15, vcc
	s_nop 1
	v_addc_co_u32_e32 v13, vcc, 0, v13, vcc
	v_lshl_add_u64 v[6:7], v[10:11], 0, v[12:13]
	v_mul_lo_u32 v1, s17, v6
	v_mul_lo_u32 v12, s16, v7
	v_mad_u64_u32 v[10:11], s[0:1], s16, v6, 0
	v_add3_u32 v1, v11, v12, v1
	v_sub_u32_e32 v11, v9, v1
	v_mov_b32_e32 v12, s17
	v_sub_co_u32_e32 v8, vcc, v8, v10
	s_nop 1
	v_subb_co_u32_e64 v10, s[0:1], v11, v12, vcc
	v_subrev_co_u32_e64 v11, s[0:1], s16, v8
	v_subb_co_u32_e32 v1, vcc, v9, v1, vcc
	s_nop 0
	v_subbrev_co_u32_e64 v10, s[0:1], 0, v10, s[0:1]
	v_cmp_le_u32_e64 s[0:1], s17, v10
	v_cmp_le_u32_e32 vcc, s17, v1
	s_nop 0
	v_cndmask_b32_e64 v12, 0, -1, s[0:1]
	v_cmp_le_u32_e64 s[0:1], s16, v11
	v_cndmask_b32_e64 v9, 0, -1, vcc
	v_cmp_le_u32_e32 vcc, s16, v8
	v_cndmask_b32_e64 v11, 0, -1, s[0:1]
	v_cmp_eq_u32_e64 s[0:1], s17, v10
	v_cndmask_b32_e64 v8, 0, -1, vcc
	v_cmp_eq_u32_e32 vcc, s17, v1
	v_cndmask_b32_e64 v14, v12, v11, s[0:1]
	v_lshl_add_u64 v[10:11], v[6:7], 0, 2
	v_lshl_add_u64 v[12:13], v[6:7], 0, 1
	v_cmp_ne_u32_e64 s[0:1], 0, v14
	v_cndmask_b32_e32 v1, v9, v8, vcc
	v_cmp_ne_u32_e32 vcc, 0, v1
	v_cndmask_b32_e64 v11, v13, v11, s[0:1]
	v_cndmask_b32_e64 v1, v12, v10, s[0:1]
	v_cndmask_b32_e32 v7, v7, v11, vcc
	v_cndmask_b32_e32 v6, v6, v1, vcc
                                        ; implicit-def: $vgpr8
.LBB2_9:
	s_or_saveexec_b64 s[30:31], s[30:31]
	s_load_dwordx2 s[0:1], s[12:13], 0x0
	s_xor_b64 exec, exec, s[30:31]
	s_cbranch_execz .LBB2_11
; %bb.10:
	v_cvt_f32_u32_e32 v1, s16
	s_sub_i32 s5, 0, s16
	v_rcp_iflag_f32_e32 v1, v1
	s_nop 0
	v_mul_f32_e32 v1, 0x4f7ffffe, v1
	v_cvt_u32_f32_e32 v1, v1
	v_mul_lo_u32 v6, s5, v1
	v_mul_hi_u32 v6, v1, v6
	v_add_u32_e32 v1, v1, v6
	v_mul_hi_u32 v1, v8, v1
	v_mul_lo_u32 v6, v1, s16
	v_sub_u32_e32 v6, v8, v6
	v_add_u32_e32 v7, 1, v1
	v_subrev_u32_e32 v8, s16, v6
	v_cmp_le_u32_e32 vcc, s16, v6
	s_nop 1
	v_cndmask_b32_e32 v6, v6, v8, vcc
	v_cndmask_b32_e32 v1, v1, v7, vcc
	v_add_u32_e32 v7, 1, v1
	v_cmp_le_u32_e32 vcc, s16, v6
	s_nop 1
	v_cndmask_b32_e32 v6, v1, v7, vcc
	v_mov_b32_e32 v7, 0
.LBB2_11:
	s_or_b64 exec, exec, s[30:31]
	v_lshl_add_u64 v[4:5], v[6:7], 0, v[4:5]
	s_mul_i32 s5, s29, s4
	s_mul_hi_u32 s12, s28, s4
	v_lshl_add_u64 v[4:5], v[4:5], 0, 1
	s_add_i32 s5, s12, s5
	s_mul_i32 s4, s28, s4
	v_cmp_lt_u64_e32 vcc, 3, v[4:5]
	s_mov_b64 s[28:29], 0
                                        ; implicit-def: $vgpr10_vgpr11
                                        ; implicit-def: $vgpr6_vgpr7
                                        ; implicit-def: $vgpr8_vgpr9
	s_and_saveexec_b64 s[12:13], vcc
	s_xor_b64 s[12:13], exec, s[12:13]
	s_cbranch_execnz .LBB2_16
; %bb.12:
	s_andn2_saveexec_b64 s[2:3], s[12:13]
	s_cbranch_execnz .LBB2_19
.LBB2_13:
	s_or_b64 exec, exec, s[2:3]
	s_and_saveexec_b64 s[2:3], s[28:29]
	s_cbranch_execnz .LBB2_20
	s_branch .LBB2_23
.LBB2_14:
                                        ; implicit-def: $sgpr8_sgpr9
	s_load_dwordx4 s[16:19], s[0:1], 0x40
	v_cvt_f32_u32_e32 v1, s22
	s_branch .LBB2_2
.LBB2_15:
                                        ; implicit-def: $sgpr34_sgpr35
	s_load_dwordx2 s[14:15], s[26:27], 0x0
	s_load_dwordx2 s[20:21], s[0:1], 0x0
	s_branch .LBB2_5
.LBB2_16:
	s_mul_i32 s28, s15, 0x300
	s_mul_hi_u32 s29, s14, 0x300
	s_add_i32 s29, s29, s28
	s_mul_i32 s28, s14, 0x300
	s_add_u32 s30, s8, s28
	s_addc_u32 s31, s9, s29
	s_lshl_b64 s[28:29], s[2:3], 8
	s_add_u32 s28, s30, s28
	s_addc_u32 s29, s31, s29
	v_lshlrev_b32_e32 v16, 1, v0
	v_mov_b32_e32 v17, 0
	v_lshl_add_u64 v[8:9], s[28:29], 0, v[16:17]
	s_lshl_b64 s[28:29], s[24:25], 8
	v_mov_b32_e32 v1, s29
	v_subrev_co_u32_e32 v8, vcc, s28, v8
	s_lshl_b64 s[34:35], s[14:15], 10
	s_lshl_b64 s[28:29], s[14:15], 9
	s_add_u32 s30, s8, s28
	s_addc_u32 s31, s9, s29
	s_waitcnt lgkmcnt(0)
	s_add_u32 s30, s0, s30
	v_lshlrev_b64 v[14:15], 1, v[2:3]
	s_addc_u32 s31, s1, s31
	v_lshl_add_u64 v[10:11], s[30:31], 0, v[14:15]
	s_lshl_b64 s[30:31], s[14:15], 8
	s_add_u32 s36, s8, s30
	s_addc_u32 s37, s9, s31
	s_add_u32 s36, s0, s36
	s_addc_u32 s37, s1, s37
	v_lshl_add_u64 v[12:13], s[36:37], 0, v[14:15]
	s_add_u32 s36, s0, s8
	s_addc_u32 s37, s1, s9
	v_lshl_add_u64 v[14:15], s[36:37], 0, v[14:15]
	s_add_u32 s36, s20, s38
	s_mul_i32 s39, s15, 0x600
	s_mul_hi_u32 s40, s14, 0x600
	s_addc_u32 s37, s21, s33
	s_add_i32 s40, s40, s39
	s_mul_i32 s39, s14, 0x600
	s_add_u32 s39, s36, s39
	s_addc_u32 s40, s37, s40
	s_lshl_b64 s[2:3], s[2:3], 9
	s_add_u32 s2, s39, s2
	s_addc_u32 s3, s40, s3
	v_lshlrev_b32_e32 v16, 2, v0
	v_subb_co_u32_e32 v9, vcc, v9, v1, vcc
	v_lshl_add_u64 v[0:1], s[2:3], 0, v[16:17]
	s_lshl_b64 s[2:3], s[24:25], 9
	v_mov_b32_e32 v16, s3
	v_subrev_co_u32_e32 v0, vcc, s2, v0
	s_lshl_b64 s[2:3], s[14:15], 11
	s_add_u32 s24, s36, s34
	s_addc_u32 s25, s37, s35
	s_add_u32 s24, s10, s24
	v_lshlrev_b64 v[20:21], 2, v[2:3]
	s_addc_u32 s25, s11, s25
	v_subb_co_u32_e32 v1, vcc, v1, v16, vcc
	v_lshl_add_u64 v[16:17], s[24:25], 0, v[20:21]
	s_add_u32 s24, s36, s28
	s_addc_u32 s25, s37, s29
	s_add_u32 s24, s10, s24
	s_addc_u32 s25, s11, s25
	v_lshl_add_u64 v[18:19], s[24:25], 0, v[20:21]
	s_add_u32 s24, s10, s36
	v_and_b32_e32 v6, -4, v4
	v_mov_b32_e32 v7, v5
	s_addc_u32 s25, s11, s37
	v_lshl_add_u64 v[8:9], s[0:1], 0, v[8:9]
	v_lshl_add_u64 v[0:1], s[10:11], 0, v[0:1]
	;; [unrolled: 1-line block ×3, first 2 shown]
	s_mov_b64 s[24:25], 0
	v_mov_b64_e32 v[22:23], v[6:7]
.LBB2_17:                               ; =>This Inner Loop Header: Depth=1
	v_lshl_add_u64 v[26:27], v[12:13], 0, s[4:5]
	v_lshl_add_u64 v[24:25], v[14:15], 0, s[4:5]
	;; [unrolled: 1-line block ×4, first 2 shown]
	flat_load_ushort v32, v[26:27]
	flat_load_ushort v33, v[24:25]
	;; [unrolled: 1-line block ×4, first 2 shown]
	v_lshl_add_u64 v[22:23], v[22:23], 0, -4
	v_cmp_eq_u64_e32 vcc, 0, v[22:23]
	v_lshl_add_u64 v[24:25], v[20:21], 0, s[22:23]
	v_lshl_add_u64 v[26:27], v[18:19], 0, s[22:23]
	;; [unrolled: 1-line block ×12, first 2 shown]
	s_or_b64 s[24:25], vcc, s[24:25]
	s_waitcnt vmcnt(0) lgkmcnt(0)
	v_lshlrev_b32_e32 v32, 16, v32
	v_lshlrev_b32_e32 v33, 16, v33
	;; [unrolled: 1-line block ×4, first 2 shown]
	global_store_dword v[24:25], v33, off
	global_store_dword v[26:27], v32, off
	;; [unrolled: 1-line block ×4, first 2 shown]
	s_andn2_b64 exec, exec, s[24:25]
	s_cbranch_execnz .LBB2_17
; %bb.18:
	s_or_b64 exec, exec, s[24:25]
	v_mad_u64_u32 v[2:3], s[2:3], v6, s16, v[2:3]
	v_mul_lo_u32 v0, v6, s17
	v_mul_lo_u32 v1, v7, s16
	v_cmp_ne_u64_e32 vcc, v[4:5], v[6:7]
	v_add3_u32 v3, v1, v3, v0
	v_mov_b64_e32 v[8:9], s[30:31]
	v_mov_b64_e32 v[6:7], s[28:29]
	;; [unrolled: 1-line block ×3, first 2 shown]
	s_and_b64 s[28:29], vcc, exec
	s_andn2_saveexec_b64 s[2:3], s[12:13]
	s_cbranch_execz .LBB2_13
.LBB2_19:
	s_add_u32 s12, s20, s38
	s_addc_u32 s13, s21, s33
	s_lshl_b64 s[24:25], s[14:15], 9
	s_lshl_b64 s[30:31], s[14:15], 8
	v_mov_b64_e32 v[10:11], s[12:13]
	v_mov_b64_e32 v[6:7], s[24:25]
	;; [unrolled: 1-line block ×3, first 2 shown]
	s_or_b64 s[28:29], s[28:29], exec
	s_or_b64 exec, exec, s[2:3]
	s_and_saveexec_b64 s[2:3], s[28:29]
	s_cbranch_execz .LBB2_23
.LBB2_20:
	s_add_u32 s4, s8, s4
	s_addc_u32 s5, s9, s5
	v_lshl_add_u64 v[0:1], v[10:11], 0, s[22:23]
	s_waitcnt lgkmcnt(0)
	s_add_u32 s0, s0, s4
	v_lshl_add_u64 v[0:1], v[2:3], 2, v[0:1]
	s_addc_u32 s1, s1, s5
	v_lshl_add_u64 v[0:1], s[10:11], 0, v[0:1]
	v_lshl_add_u64 v[4:5], v[2:3], 1, s[0:1]
	s_mov_b64 s[0:1], 0
.LBB2_21:                               ; =>This Inner Loop Header: Depth=1
	flat_load_ushort v10, v[4:5]
	v_lshl_add_u64 v[2:3], v[2:3], 0, s[16:17]
	v_cmp_le_i64_e32 vcc, s[26:27], v[2:3]
	v_lshl_add_u64 v[4:5], v[4:5], 0, v[8:9]
	s_or_b64 s[0:1], vcc, s[0:1]
	s_waitcnt vmcnt(0) lgkmcnt(0)
	v_lshlrev_b32_e32 v10, 16, v10
	global_store_dword v[0:1], v10, off
	v_lshl_add_u64 v[0:1], v[0:1], 0, v[6:7]
	s_andn2_b64 exec, exec, s[0:1]
	s_cbranch_execnz .LBB2_21
; %bb.22:
	s_or_b64 exec, exec, s[0:1]
.LBB2_23:
	s_or_b64 exec, exec, s[2:3]
.LBB2_24:
	s_or_b64 exec, exec, s[18:19]
	s_waitcnt lgkmcnt(0)
	s_lshr_b64 s[0:1], s[6:7], 2
	v_cmp_gt_u64_e32 vcc, s[0:1], v[2:3]
	s_and_saveexec_b64 s[2:3], vcc
	s_cbranch_execz .LBB2_27
; %bb.25:
	s_add_u32 s2, s20, s38
	s_addc_u32 s3, s21, s33
	s_add_u32 s2, s2, s22
	s_addc_u32 s3, s3, s23
	s_add_u32 s2, s10, s2
	s_addc_u32 s3, s11, s3
	v_lshl_add_u64 v[0:1], v[2:3], 2, s[2:3]
	s_lshl_b64 s[2:3], s[14:15], 9
	s_mov_b64 s[4:5], 0
	v_mov_b32_e32 v4, 0
.LBB2_26:                               ; =>This Inner Loop Header: Depth=1
	v_lshl_add_u64 v[2:3], v[2:3], 0, s[16:17]
	v_cmp_le_i64_e32 vcc, s[0:1], v[2:3]
	global_store_dword v[0:1], v4, off
	s_or_b64 s[4:5], vcc, s[4:5]
	v_lshl_add_u64 v[0:1], v[0:1], 0, s[2:3]
	s_andn2_b64 exec, exec, s[4:5]
	s_cbranch_execnz .LBB2_26
.LBB2_27:
	s_endpgm
	.section	.rodata,"a",@progbits
	.p2align	6, 0x0
	.amdhsa_kernel _ZN2at6native6detailL21chunk_cat_cuda_kernelIfN3c108BFloat16EEEvPPT0_PT_PlSA_SA_SA_SA_SA_lll
		.amdhsa_group_segment_fixed_size 0
		.amdhsa_private_segment_fixed_size 0
		.amdhsa_kernarg_size 88
		.amdhsa_user_sgpr_count 2
		.amdhsa_user_sgpr_dispatch_ptr 0
		.amdhsa_user_sgpr_queue_ptr 0
		.amdhsa_user_sgpr_kernarg_segment_ptr 1
		.amdhsa_user_sgpr_dispatch_id 0
		.amdhsa_user_sgpr_kernarg_preload_length 0
		.amdhsa_user_sgpr_kernarg_preload_offset 0
		.amdhsa_user_sgpr_private_segment_size 0
		.amdhsa_uses_dynamic_stack 0
		.amdhsa_enable_private_segment 0
		.amdhsa_system_sgpr_workgroup_id_x 1
		.amdhsa_system_sgpr_workgroup_id_y 1
		.amdhsa_system_sgpr_workgroup_id_z 1
		.amdhsa_system_sgpr_workgroup_info 0
		.amdhsa_system_vgpr_workitem_id 0
		.amdhsa_next_free_vgpr 36
		.amdhsa_next_free_sgpr 46
		.amdhsa_accum_offset 36
		.amdhsa_reserve_vcc 1
		.amdhsa_float_round_mode_32 0
		.amdhsa_float_round_mode_16_64 0
		.amdhsa_float_denorm_mode_32 3
		.amdhsa_float_denorm_mode_16_64 3
		.amdhsa_dx10_clamp 1
		.amdhsa_ieee_mode 1
		.amdhsa_fp16_overflow 0
		.amdhsa_tg_split 0
		.amdhsa_exception_fp_ieee_invalid_op 0
		.amdhsa_exception_fp_denorm_src 0
		.amdhsa_exception_fp_ieee_div_zero 0
		.amdhsa_exception_fp_ieee_overflow 0
		.amdhsa_exception_fp_ieee_underflow 0
		.amdhsa_exception_fp_ieee_inexact 0
		.amdhsa_exception_int_div_zero 0
	.end_amdhsa_kernel
	.section	.text._ZN2at6native6detailL21chunk_cat_cuda_kernelIfN3c108BFloat16EEEvPPT0_PT_PlSA_SA_SA_SA_SA_lll,"axG",@progbits,_ZN2at6native6detailL21chunk_cat_cuda_kernelIfN3c108BFloat16EEEvPPT0_PT_PlSA_SA_SA_SA_SA_lll,comdat
.Lfunc_end2:
	.size	_ZN2at6native6detailL21chunk_cat_cuda_kernelIfN3c108BFloat16EEEvPPT0_PT_PlSA_SA_SA_SA_SA_lll, .Lfunc_end2-_ZN2at6native6detailL21chunk_cat_cuda_kernelIfN3c108BFloat16EEEvPPT0_PT_PlSA_SA_SA_SA_SA_lll
                                        ; -- End function
	.set _ZN2at6native6detailL21chunk_cat_cuda_kernelIfN3c108BFloat16EEEvPPT0_PT_PlSA_SA_SA_SA_SA_lll.num_vgpr, 36
	.set _ZN2at6native6detailL21chunk_cat_cuda_kernelIfN3c108BFloat16EEEvPPT0_PT_PlSA_SA_SA_SA_SA_lll.num_agpr, 0
	.set _ZN2at6native6detailL21chunk_cat_cuda_kernelIfN3c108BFloat16EEEvPPT0_PT_PlSA_SA_SA_SA_SA_lll.numbered_sgpr, 46
	.set _ZN2at6native6detailL21chunk_cat_cuda_kernelIfN3c108BFloat16EEEvPPT0_PT_PlSA_SA_SA_SA_SA_lll.num_named_barrier, 0
	.set _ZN2at6native6detailL21chunk_cat_cuda_kernelIfN3c108BFloat16EEEvPPT0_PT_PlSA_SA_SA_SA_SA_lll.private_seg_size, 0
	.set _ZN2at6native6detailL21chunk_cat_cuda_kernelIfN3c108BFloat16EEEvPPT0_PT_PlSA_SA_SA_SA_SA_lll.uses_vcc, 1
	.set _ZN2at6native6detailL21chunk_cat_cuda_kernelIfN3c108BFloat16EEEvPPT0_PT_PlSA_SA_SA_SA_SA_lll.uses_flat_scratch, 0
	.set _ZN2at6native6detailL21chunk_cat_cuda_kernelIfN3c108BFloat16EEEvPPT0_PT_PlSA_SA_SA_SA_SA_lll.has_dyn_sized_stack, 0
	.set _ZN2at6native6detailL21chunk_cat_cuda_kernelIfN3c108BFloat16EEEvPPT0_PT_PlSA_SA_SA_SA_SA_lll.has_recursion, 0
	.set _ZN2at6native6detailL21chunk_cat_cuda_kernelIfN3c108BFloat16EEEvPPT0_PT_PlSA_SA_SA_SA_SA_lll.has_indirect_call, 0
	.section	.AMDGPU.csdata,"",@progbits
; Kernel info:
; codeLenInByte = 3468
; TotalNumSgprs: 52
; NumVgprs: 36
; NumAgprs: 0
; TotalNumVgprs: 36
; ScratchSize: 0
; MemoryBound: 0
; FloatMode: 240
; IeeeMode: 1
; LDSByteSize: 0 bytes/workgroup (compile time only)
; SGPRBlocks: 6
; VGPRBlocks: 4
; NumSGPRsForWavesPerEU: 52
; NumVGPRsForWavesPerEU: 36
; AccumOffset: 36
; Occupancy: 8
; WaveLimiterHint : 1
; COMPUTE_PGM_RSRC2:SCRATCH_EN: 0
; COMPUTE_PGM_RSRC2:USER_SGPR: 2
; COMPUTE_PGM_RSRC2:TRAP_HANDLER: 0
; COMPUTE_PGM_RSRC2:TGID_X_EN: 1
; COMPUTE_PGM_RSRC2:TGID_Y_EN: 1
; COMPUTE_PGM_RSRC2:TGID_Z_EN: 1
; COMPUTE_PGM_RSRC2:TIDIG_COMP_CNT: 0
; COMPUTE_PGM_RSRC3_GFX90A:ACCUM_OFFSET: 8
; COMPUTE_PGM_RSRC3_GFX90A:TG_SPLIT: 0
	.section	.AMDGPU.gpr_maximums,"",@progbits
	.set amdgpu.max_num_vgpr, 0
	.set amdgpu.max_num_agpr, 0
	.set amdgpu.max_num_sgpr, 0
	.section	.AMDGPU.csdata,"",@progbits
	.type	__hip_cuid_4958c224aee9d009,@object ; @__hip_cuid_4958c224aee9d009
	.section	.bss,"aw",@nobits
	.globl	__hip_cuid_4958c224aee9d009
__hip_cuid_4958c224aee9d009:
	.byte	0                               ; 0x0
	.size	__hip_cuid_4958c224aee9d009, 1

	.ident	"AMD clang version 22.0.0git (https://github.com/RadeonOpenCompute/llvm-project roc-7.2.4 26084 f58b06dce1f9c15707c5f808fd002e18c2accf7e)"
	.section	".note.GNU-stack","",@progbits
	.addrsig
	.addrsig_sym __hip_cuid_4958c224aee9d009
	.amdgpu_metadata
---
amdhsa.kernels:
  - .agpr_count:     0
    .args:
      - .address_space:  global
        .offset:         0
        .size:           8
        .value_kind:     global_buffer
      - .address_space:  global
        .offset:         8
        .size:           8
        .value_kind:     global_buffer
      - .address_space:  global
        .offset:         16
        .size:           8
        .value_kind:     global_buffer
      - .address_space:  global
        .offset:         24
        .size:           8
        .value_kind:     global_buffer
      - .address_space:  global
        .offset:         32
        .size:           8
        .value_kind:     global_buffer
      - .offset:         40
        .size:           8
        .value_kind:     by_value
      - .offset:         48
        .size:           8
        .value_kind:     by_value
      - .offset:         56
        .size:           4
        .value_kind:     hidden_block_count_x
      - .offset:         60
        .size:           4
        .value_kind:     hidden_block_count_y
      - .offset:         64
        .size:           4
        .value_kind:     hidden_block_count_z
      - .offset:         68
        .size:           2
        .value_kind:     hidden_group_size_x
      - .offset:         70
        .size:           2
        .value_kind:     hidden_group_size_y
      - .offset:         72
        .size:           2
        .value_kind:     hidden_group_size_z
      - .offset:         74
        .size:           2
        .value_kind:     hidden_remainder_x
      - .offset:         76
        .size:           2
        .value_kind:     hidden_remainder_y
      - .offset:         78
        .size:           2
        .value_kind:     hidden_remainder_z
      - .offset:         96
        .size:           8
        .value_kind:     hidden_global_offset_x
      - .offset:         104
        .size:           8
        .value_kind:     hidden_global_offset_y
      - .offset:         112
        .size:           8
        .value_kind:     hidden_global_offset_z
      - .offset:         120
        .size:           2
        .value_kind:     hidden_grid_dims
    .group_segment_fixed_size: 0
    .kernarg_segment_align: 8
    .kernarg_segment_size: 312
    .language:       OpenCL C
    .language_version:
      - 2
      - 0
    .max_flat_workgroup_size: 1024
    .name:           _ZN2at6native6detailL51split_with_sizes_copy_out_contiguous_no_cast_kernelEPPcS3_PlS4_S4_ll
    .private_segment_fixed_size: 0
    .sgpr_count:     41
    .sgpr_spill_count: 0
    .symbol:         _ZN2at6native6detailL51split_with_sizes_copy_out_contiguous_no_cast_kernelEPPcS3_PlS4_S4_ll.kd
    .uniform_work_group_size: 1
    .uses_dynamic_stack: false
    .vgpr_count:     28
    .vgpr_spill_count: 0
    .wavefront_size: 64
  - .agpr_count:     0
    .args:
      - .address_space:  global
        .offset:         0
        .size:           8
        .value_kind:     global_buffer
      - .address_space:  global
        .offset:         8
        .size:           8
        .value_kind:     global_buffer
      - .address_space:  global
        .offset:         16
        .size:           8
        .value_kind:     global_buffer
      - .address_space:  global
        .offset:         24
        .size:           8
        .value_kind:     global_buffer
      - .address_space:  global
        .offset:         32
        .size:           8
        .value_kind:     global_buffer
      - .address_space:  global
        .offset:         40
        .size:           8
        .value_kind:     global_buffer
      - .address_space:  global
        .offset:         48
        .size:           8
        .value_kind:     global_buffer
      - .address_space:  global
        .offset:         56
        .size:           8
        .value_kind:     global_buffer
      - .offset:         64
        .size:           8
        .value_kind:     by_value
      - .offset:         72
        .size:           8
        .value_kind:     by_value
      - .offset:         80
        .size:           8
        .value_kind:     by_value
    .group_segment_fixed_size: 0
    .kernarg_segment_align: 8
    .kernarg_segment_size: 88
    .language:       OpenCL C
    .language_version:
      - 2
      - 0
    .max_flat_workgroup_size: 1024
    .name:           _ZN2at6native6detailL21chunk_cat_cuda_kernelIccEEvPPT0_PT_PlS8_S8_S8_S8_S8_lll
    .private_segment_fixed_size: 0
    .sgpr_count:     52
    .sgpr_spill_count: 0
    .symbol:         _ZN2at6native6detailL21chunk_cat_cuda_kernelIccEEvPPT0_PT_PlS8_S8_S8_S8_S8_lll.kd
    .uniform_work_group_size: 1
    .uses_dynamic_stack: false
    .vgpr_count:     14
    .vgpr_spill_count: 0
    .wavefront_size: 64
  - .agpr_count:     0
    .args:
      - .address_space:  global
        .offset:         0
        .size:           8
        .value_kind:     global_buffer
      - .address_space:  global
        .offset:         8
        .size:           8
        .value_kind:     global_buffer
      - .address_space:  global
        .offset:         16
        .size:           8
        .value_kind:     global_buffer
      - .address_space:  global
        .offset:         24
        .size:           8
        .value_kind:     global_buffer
      - .address_space:  global
        .offset:         32
        .size:           8
        .value_kind:     global_buffer
      - .address_space:  global
        .offset:         40
        .size:           8
        .value_kind:     global_buffer
      - .address_space:  global
        .offset:         48
        .size:           8
        .value_kind:     global_buffer
      - .address_space:  global
        .offset:         56
        .size:           8
        .value_kind:     global_buffer
      - .offset:         64
        .size:           8
        .value_kind:     by_value
      - .offset:         72
        .size:           8
        .value_kind:     by_value
      - .offset:         80
        .size:           8
        .value_kind:     by_value
    .group_segment_fixed_size: 0
    .kernarg_segment_align: 8
    .kernarg_segment_size: 88
    .language:       OpenCL C
    .language_version:
      - 2
      - 0
    .max_flat_workgroup_size: 1024
    .name:           _ZN2at6native6detailL21chunk_cat_cuda_kernelIfN3c108BFloat16EEEvPPT0_PT_PlSA_SA_SA_SA_SA_lll
    .private_segment_fixed_size: 0
    .sgpr_count:     52
    .sgpr_spill_count: 0
    .symbol:         _ZN2at6native6detailL21chunk_cat_cuda_kernelIfN3c108BFloat16EEEvPPT0_PT_PlSA_SA_SA_SA_SA_lll.kd
    .uniform_work_group_size: 1
    .uses_dynamic_stack: false
    .vgpr_count:     36
    .vgpr_spill_count: 0
    .wavefront_size: 64
amdhsa.target:   amdgcn-amd-amdhsa--gfx950
amdhsa.version:
  - 1
  - 2
...

	.end_amdgpu_metadata
